;; amdgpu-corpus repo=ROCm/rocFFT kind=compiled arch=gfx1201 opt=O3
	.text
	.amdgcn_target "amdgcn-amd-amdhsa--gfx1201"
	.amdhsa_code_object_version 6
	.protected	bluestein_single_back_len2400_dim1_sp_op_CI_CI ; -- Begin function bluestein_single_back_len2400_dim1_sp_op_CI_CI
	.globl	bluestein_single_back_len2400_dim1_sp_op_CI_CI
	.p2align	8
	.type	bluestein_single_back_len2400_dim1_sp_op_CI_CI,@function
bluestein_single_back_len2400_dim1_sp_op_CI_CI: ; @bluestein_single_back_len2400_dim1_sp_op_CI_CI
; %bb.0:
	s_load_b128 s[8:11], s[0:1], 0x28
	v_mul_u32_u24_e32 v1, 0x112, v0
	s_mov_b32 s2, exec_lo
	v_mov_b32_e32 v65, 0
	s_delay_alu instid0(VALU_DEP_2) | instskip(NEXT) | instid1(VALU_DEP_1)
	v_lshrrev_b32_e32 v1, 16, v1
	v_add_nc_u32_e32 v64, ttmp9, v1
	s_wait_kmcnt 0x0
	s_delay_alu instid0(VALU_DEP_1)
	v_cmpx_gt_u64_e64 s[8:9], v[64:65]
	s_cbranch_execz .LBB0_23
; %bb.1:
	s_clause 0x1
	s_load_b128 s[4:7], s[0:1], 0x18
	s_load_b64 s[16:17], s[0:1], 0x0
	v_mul_lo_u16 v1, 0xf0, v1
	s_movk_i32 s2, 0xf9e8
	s_mov_b32 s3, -1
	s_delay_alu instid0(VALU_DEP_1) | instskip(NEXT) | instid1(VALU_DEP_1)
	v_sub_nc_u16 v22, v0, v1
	v_and_b32_e32 v100, 0xffff, v22
	s_wait_kmcnt 0x0
	s_load_b128 s[12:15], s[4:5], 0x0
	s_wait_kmcnt 0x0
	v_mad_co_u64_u32 v[0:1], null, s14, v64, 0
	v_mad_co_u64_u32 v[2:3], null, s12, v100, 0
	s_mul_u64 s[4:5], s[12:13], 0x258
	s_mul_u64 s[2:3], s[12:13], s[2:3]
	s_delay_alu instid0(SALU_CYCLE_1) | instskip(NEXT) | instid1(VALU_DEP_1)
	s_lshl_b64 s[2:3], s[2:3], 3
	v_mad_co_u64_u32 v[4:5], null, s15, v64, v[1:2]
	s_delay_alu instid0(VALU_DEP_1) | instskip(NEXT) | instid1(VALU_DEP_3)
	v_mov_b32_e32 v1, v4
	v_mad_co_u64_u32 v[5:6], null, s13, v100, v[3:4]
	v_lshlrev_b32_e32 v99, 3, v100
	s_delay_alu instid0(VALU_DEP_3)
	v_lshlrev_b64_e32 v[0:1], 3, v[0:1]
	global_load_b64 v[79:80], v99, s[16:17]
	v_mov_b32_e32 v3, v5
	s_clause 0x2
	global_load_b64 v[73:74], v99, s[16:17] offset:4800
	global_load_b64 v[71:72], v99, s[16:17] offset:9600
	global_load_b64 v[69:70], v99, s[16:17] offset:14400
	v_add_co_u32 v0, vcc_lo, s10, v0
	v_add_co_ci_u32_e32 v1, vcc_lo, s11, v1, vcc_lo
	v_lshlrev_b64_e32 v[2:3], 3, v[2:3]
	s_lshl_b64 s[10:11], s[4:5], 3
	s_delay_alu instid0(VALU_DEP_1) | instskip(SKIP_1) | instid1(VALU_DEP_2)
	v_add_co_u32 v0, vcc_lo, v0, v2
	s_wait_alu 0xfffd
	v_add_co_ci_u32_e32 v1, vcc_lo, v1, v3, vcc_lo
	s_wait_alu 0xfffe
	s_delay_alu instid0(VALU_DEP_2) | instskip(SKIP_1) | instid1(VALU_DEP_2)
	v_add_co_u32 v2, vcc_lo, v0, s10
	s_wait_alu 0xfffd
	v_add_co_ci_u32_e32 v3, vcc_lo, s11, v1, vcc_lo
	s_delay_alu instid0(VALU_DEP_2) | instskip(SKIP_1) | instid1(VALU_DEP_2)
	v_add_co_u32 v4, vcc_lo, v2, s10
	s_wait_alu 0xfffd
	v_add_co_ci_u32_e32 v5, vcc_lo, s11, v3, vcc_lo
	s_clause 0x1
	global_load_b64 v[6:7], v[0:1], off
	global_load_b64 v[2:3], v[2:3], off
	v_add_co_u32 v0, vcc_lo, v4, s10
	s_wait_alu 0xfffd
	v_add_co_ci_u32_e32 v1, vcc_lo, s11, v5, vcc_lo
	s_clause 0x1
	global_load_b64 v[4:5], v[4:5], off
	global_load_b64 v[10:11], v[0:1], off
	v_add_co_u32 v8, vcc_lo, v0, s2
	s_wait_alu 0xfffd
	v_add_co_ci_u32_e32 v9, vcc_lo, s3, v1, vcc_lo
	s_delay_alu instid0(VALU_DEP_2) | instskip(SKIP_1) | instid1(VALU_DEP_2)
	v_add_co_u32 v0, vcc_lo, v8, s10
	s_wait_alu 0xfffd
	v_add_co_ci_u32_e32 v1, vcc_lo, s11, v9, vcc_lo
	s_delay_alu instid0(VALU_DEP_2) | instskip(SKIP_1) | instid1(VALU_DEP_2)
	v_add_co_u32 v14, vcc_lo, v0, s10
	s_wait_alu 0xfffd
	v_add_co_ci_u32_e32 v15, vcc_lo, s11, v1, vcc_lo
	s_wait_loadcnt 0x3
	v_mul_f32_e32 v18, v7, v80
	s_wait_loadcnt 0x2
	v_mul_f32_e32 v20, v3, v74
	s_clause 0x1
	global_load_b64 v[67:68], v99, s[16:17] offset:6720
	global_load_b64 v[81:82], v99, s[16:17] offset:1920
	global_load_b64 v[8:9], v[8:9], off
	global_load_b64 v[12:13], v[0:1], off
	v_add_co_u32 v0, vcc_lo, v14, s10
	s_wait_alu 0xfffd
	v_add_co_ci_u32_e32 v1, vcc_lo, s11, v15, vcc_lo
	s_clause 0x1
	global_load_b64 v[75:76], v99, s[16:17] offset:16320
	global_load_b64 v[77:78], v99, s[16:17] offset:11520
	global_load_b64 v[14:15], v[14:15], off
	global_load_b64 v[16:17], v[0:1], off
	v_mul_f32_e32 v19, v6, v80
	s_load_b64 s[8:9], s[0:1], 0x38
	s_load_b128 s[4:7], s[6:7], 0x0
	s_wait_loadcnt 0x9
	v_dual_fmac_f32 v18, v6, v79 :: v_dual_mul_f32 v23, v4, v72
	s_wait_loadcnt 0x8
	v_mul_f32_e32 v6, v11, v70
	v_fma_f32 v19, v7, v79, -v19
	v_mul_f32_e32 v7, v2, v74
	v_fmac_f32_e32 v20, v2, v73
	v_mul_f32_e32 v2, v5, v72
	v_mul_f32_e32 v24, v10, v70
	v_fmac_f32_e32 v6, v10, v69
	v_fma_f32 v21, v3, v73, -v7
	v_fma_f32 v3, v5, v71, -v23
	v_fmac_f32_e32 v2, v4, v71
	v_fma_f32 v7, v11, v69, -v24
	v_add_co_u32 v65, s12, s16, v99
	s_wait_alu 0xf1ff
	v_add_co_ci_u32_e64 v66, null, s17, 0, s12
	v_cmp_gt_u16_e32 vcc_lo, 0x78, v22
	s_wait_loadcnt 0x5
	v_mul_f32_e32 v4, v9, v82
	s_wait_loadcnt 0x4
	v_dual_mul_f32 v5, v8, v82 :: v_dual_mul_f32 v10, v13, v68
	ds_store_b64 v99, v[20:21] offset:4800
	ds_store_b64 v99, v[2:3] offset:9600
	;; [unrolled: 1-line block ×3, first 2 shown]
	v_mul_f32_e32 v3, v12, v68
	s_wait_loadcnt 0x1
	v_mul_f32_e32 v7, v14, v78
	v_mul_f32_e32 v2, v15, v78
	v_fmac_f32_e32 v4, v8, v81
	s_wait_loadcnt 0x0
	v_mul_f32_e32 v6, v17, v76
	v_mul_f32_e32 v8, v16, v76
	v_fma_f32 v5, v9, v81, -v5
	v_fmac_f32_e32 v10, v12, v67
	v_fma_f32 v11, v13, v67, -v3
	v_fmac_f32_e32 v2, v14, v77
	;; [unrolled: 2-line block ×3, first 2 shown]
	v_fma_f32 v7, v17, v75, -v8
	ds_store_2addr_b64 v99, v[18:19], v[4:5] offset1:240
	ds_store_b64 v99, v[10:11] offset:6720
	ds_store_b64 v99, v[2:3] offset:11520
	;; [unrolled: 1-line block ×3, first 2 shown]
	s_and_saveexec_b32 s12, vcc_lo
	s_cbranch_execz .LBB0_3
; %bb.2:
	v_add_co_u32 v0, s2, v0, s2
	s_wait_alu 0xf1ff
	v_add_co_ci_u32_e64 v1, s2, s3, v1, s2
	s_delay_alu instid0(VALU_DEP_2) | instskip(SKIP_1) | instid1(VALU_DEP_2)
	v_add_co_u32 v2, s2, v0, s10
	s_wait_alu 0xf1ff
	v_add_co_ci_u32_e64 v3, s2, s11, v1, s2
	global_load_b64 v[4:5], v[65:66], off offset:3840
	global_load_b64 v[0:1], v[0:1], off
	global_load_b64 v[6:7], v[2:3], off
	v_add_co_u32 v2, s2, v2, s10
	s_wait_alu 0xf1ff
	v_add_co_ci_u32_e64 v3, s2, s11, v3, s2
	global_load_b64 v[8:9], v[65:66], off offset:8640
	v_add_co_u32 v10, s2, v2, s10
	s_wait_alu 0xf1ff
	v_add_co_ci_u32_e64 v11, s2, s11, v3, s2
	global_load_b64 v[2:3], v[2:3], off
	s_clause 0x1
	global_load_b64 v[12:13], v[65:66], off offset:13440
	global_load_b64 v[14:15], v[65:66], off offset:18240
	global_load_b64 v[10:11], v[10:11], off
	s_wait_loadcnt 0x6
	v_mul_f32_e32 v16, v1, v5
	v_mul_f32_e32 v17, v0, v5
	s_wait_loadcnt 0x4
	v_mul_f32_e32 v5, v7, v9
	s_delay_alu instid0(VALU_DEP_1) | instskip(SKIP_3) | instid1(VALU_DEP_1)
	v_fmac_f32_e32 v5, v6, v8
	v_fmac_f32_e32 v16, v0, v4
	s_wait_loadcnt 0x2
	v_mul_f32_e32 v0, v3, v13
	v_fmac_f32_e32 v0, v2, v12
	v_fma_f32 v17, v1, v4, -v17
	v_mul_f32_e32 v1, v6, v9
	s_wait_loadcnt 0x0
	v_dual_mul_f32 v4, v2, v13 :: v_dual_mul_f32 v9, v11, v15
	v_mul_f32_e32 v13, v10, v15
	s_delay_alu instid0(VALU_DEP_3) | instskip(NEXT) | instid1(VALU_DEP_3)
	v_fma_f32 v6, v7, v8, -v1
	v_fma_f32 v1, v3, v12, -v4
	s_delay_alu instid0(VALU_DEP_4) | instskip(NEXT) | instid1(VALU_DEP_4)
	v_fmac_f32_e32 v9, v10, v14
	v_fma_f32 v10, v11, v14, -v13
	ds_store_b64 v99, v[16:17] offset:3840
	ds_store_b64 v99, v[5:6] offset:8640
	;; [unrolled: 1-line block ×4, first 2 shown]
.LBB0_3:
	s_wait_alu 0xfffe
	s_or_b32 exec_lo, exec_lo, s12
	v_add_nc_u32_e32 v0, 0x1280, v99
	v_add_nc_u32_e32 v8, 0x2580, v99
	;; [unrolled: 1-line block ×3, first 2 shown]
	global_wb scope:SCOPE_SE
	s_wait_dscnt 0x0
	s_wait_kmcnt 0x0
	s_barrier_signal -1
	s_barrier_wait -1
	global_inv scope:SCOPE_SE
	ds_load_2addr_b64 v[4:7], v99 offset1:240
	ds_load_2addr_b64 v[0:3], v0 offset0:8 offset1:248
	ds_load_2addr_b64 v[12:15], v8 offset1:240
	ds_load_2addr_b64 v[8:11], v9 offset0:8 offset1:248
                                        ; implicit-def: $vgpr20
                                        ; implicit-def: $vgpr22
                                        ; implicit-def: $vgpr16
                                        ; implicit-def: $vgpr18
	s_and_saveexec_b32 s2, vcc_lo
	s_cbranch_execz .LBB0_5
; %bb.4:
	ds_load_b64 v[18:19], v99 offset:3840
	ds_load_b64 v[16:17], v99 offset:8640
	;; [unrolled: 1-line block ×4, first 2 shown]
.LBB0_5:
	s_wait_alu 0xfffe
	s_or_b32 exec_lo, exec_lo, s2
	s_wait_dscnt 0x1
	v_dual_sub_f32 v25, v4, v12 :: v_dual_sub_f32 v26, v5, v13
	s_wait_dscnt 0x0
	v_dual_sub_f32 v12, v0, v8 :: v_dual_sub_f32 v9, v1, v9
	v_sub_f32_e32 v30, v7, v15
	s_delay_alu instid0(VALU_DEP_3) | instskip(SKIP_1) | instid1(VALU_DEP_4)
	v_fma_f32 v8, v4, 2.0, -v25
	v_fma_f32 v27, v5, 2.0, -v26
	;; [unrolled: 1-line block ×4, first 2 shown]
	v_sub_f32_e32 v28, v6, v14
	v_sub_f32_e32 v15, v2, v10
	v_fma_f32 v14, v7, 2.0, -v30
	v_sub_f32_e32 v4, v8, v0
	v_dual_sub_f32 v0, v3, v11 :: v_dual_sub_f32 v21, v17, v21
	v_sub_f32_e32 v5, v27, v1
	v_fma_f32 v1, v6, 2.0, -v28
	v_fma_f32 v2, v2, 2.0, -v15
	s_delay_alu instid0(VALU_DEP_4) | instskip(SKIP_2) | instid1(VALU_DEP_2)
	v_fma_f32 v3, v3, 2.0, -v0
	v_dual_sub_f32 v6, v25, v9 :: v_dual_add_f32 v7, v26, v12
	s_load_b64 s[2:3], s[0:1], 0x8
	v_dual_sub_f32 v12, v1, v2 :: v_dual_sub_f32 v13, v14, v3
	s_delay_alu instid0(VALU_DEP_2) | instskip(NEXT) | instid1(VALU_DEP_3)
	v_fma_f32 v10, v25, 2.0, -v6
	v_fma_f32 v11, v26, 2.0, -v7
	v_sub_f32_e32 v20, v16, v20
	s_delay_alu instid0(VALU_DEP_4) | instskip(SKIP_4) | instid1(VALU_DEP_4)
	v_fma_f32 v25, v1, 2.0, -v12
	v_sub_f32_e32 v1, v19, v23
	v_fma_f32 v26, v14, 2.0, -v13
	v_dual_sub_f32 v14, v28, v0 :: v_dual_add_f32 v15, v30, v15
	v_fma_f32 v17, v17, 2.0, -v21
	v_fma_f32 v3, v19, 2.0, -v1
	v_sub_f32_e32 v0, v18, v22
	v_fma_f32 v16, v16, 2.0, -v20
	v_add_co_u32 v24, null, 0xf0, v100
	s_delay_alu instid0(VALU_DEP_4) | instskip(NEXT) | instid1(VALU_DEP_4)
	v_sub_f32_e32 v49, v3, v17
	v_fma_f32 v2, v18, 2.0, -v0
	v_lshlrev_b16 v18, 2, v100
	v_add_co_u32 v29, null, 0x1e0, v100
	v_fma_f32 v8, v8, 2.0, -v4
	s_delay_alu instid0(VALU_DEP_4) | instskip(NEXT) | instid1(VALU_DEP_4)
	v_dual_sub_f32 v48, v2, v16 :: v_dual_add_f32 v51, v20, v1
	v_and_b32_e32 v16, 0xffff, v18
	v_fma_f32 v9, v27, 2.0, -v5
	v_sub_f32_e32 v50, v0, v21
	v_lshlrev_b32_e32 v104, 5, v24
	v_lshlrev_b32_e32 v102, 5, v29
	;; [unrolled: 1-line block ×3, first 2 shown]
	v_fma_f32 v27, v28, 2.0, -v14
	v_fma_f32 v28, v30, 2.0, -v15
	global_wb scope:SCOPE_SE
	s_wait_kmcnt 0x0
	s_barrier_signal -1
	s_barrier_wait -1
	global_inv scope:SCOPE_SE
	ds_store_b128 v103, v[8:11]
	ds_store_b128 v103, v[4:7] offset:16
	ds_store_b128 v104, v[25:28]
	ds_store_b128 v104, v[12:15] offset:16
	s_and_saveexec_b32 s0, vcc_lo
	s_cbranch_execz .LBB0_7
; %bb.6:
	v_fma_f32 v5, v1, 2.0, -v51
	v_fma_f32 v4, v0, 2.0, -v50
	;; [unrolled: 1-line block ×4, first 2 shown]
	ds_store_b128 v102, v[2:5]
	ds_store_b128 v102, v[48:51] offset:16
.LBB0_7:
	s_wait_alu 0xfffe
	s_or_b32 exec_lo, exec_lo, s0
	v_and_b32_e32 v37, 3, v100
	global_wb scope:SCOPE_SE
	s_wait_dscnt 0x0
	s_barrier_signal -1
	s_barrier_wait -1
	global_inv scope:SCOPE_SE
	v_mad_co_u64_u32 v[16:17], null, 0x48, v37, s[2:3]
	v_lshrrev_b32_e32 v29, 2, v100
	v_cmp_gt_u16_e64 s0, 0xa0, v100
	s_clause 0x4
	global_load_b128 v[12:15], v[16:17], off
	global_load_b128 v[8:11], v[16:17], off offset:16
	global_load_b128 v[4:7], v[16:17], off offset:32
	;; [unrolled: 1-line block ×3, first 2 shown]
	global_load_b64 v[83:84], v[16:17], off offset:64
	v_and_b32_e32 v16, 0xff, v100
	v_add_nc_u32_e32 v42, 0xf00, v99
	v_add_nc_u32_e32 v44, 0x1e00, v99
	;; [unrolled: 1-line block ×4, first 2 shown]
	v_mul_lo_u16 v20, 0xcd, v16
	ds_load_2addr_b64 v[16:19], v99 offset1:240
	ds_load_2addr_b64 v[25:28], v44 offset1:240
	v_mul_u32_u24_e32 v38, 40, v29
	ds_load_2addr_b64 v[29:32], v52 offset1:240
	v_lshrrev_b16 v43, 13, v20
	ds_load_2addr_b64 v[20:23], v42 offset1:240
	v_or_b32_e32 v37, v38, v37
	v_mul_lo_u16 v33, v43, 40
	s_delay_alu instid0(VALU_DEP_2) | instskip(NEXT) | instid1(VALU_DEP_2)
	v_lshlrev_b32_e32 v101, 3, v37
	v_sub_nc_u16 v39, v100, v33
	ds_load_2addr_b64 v[33:36], v56 offset1:240
	global_wb scope:SCOPE_SE
	s_wait_loadcnt_dscnt 0x0
	s_barrier_signal -1
	s_barrier_wait -1
	v_and_b32_e32 v53, 0xff, v39
	global_inv scope:SCOPE_SE
	v_mul_f32_e32 v45, v20, v15
	v_mul_f32_e32 v47, v22, v9
	v_mul_f32_e32 v37, v19, v13
	v_mul_f32_e32 v62, v31, v1
	v_dual_mul_f32 v38, v18, v13 :: v_dual_mul_f32 v39, v21, v15
	v_mul_f32_e32 v58, v27, v5
	v_mul_f32_e32 v46, v23, v9
	;; [unrolled: 1-line block ×3, first 2 shown]
	v_dual_mul_f32 v55, v25, v11 :: v_dual_mul_f32 v86, v36, v84
	v_dual_mul_f32 v59, v30, v7 :: v_dual_fmac_f32 v38, v19, v12
	v_dual_mul_f32 v60, v29, v7 :: v_dual_fmac_f32 v47, v23, v8
	;; [unrolled: 1-line block ×3, first 2 shown]
	s_delay_alu instid0(VALU_DEP_2)
	v_dual_mul_f32 v85, v33, v3 :: v_dual_fmac_f32 v60, v30, v6
	v_mul_f32_e32 v87, v35, v84
	v_dual_fmac_f32 v45, v21, v14 :: v_dual_fmac_f32 v62, v32, v0
	v_mul_f32_e32 v57, v28, v5
	v_mul_f32_e32 v61, v32, v1
	v_fma_f32 v37, v18, v12, -v37
	v_fma_f32 v18, v20, v14, -v39
	;; [unrolled: 1-line block ×4, first 2 shown]
	v_fmac_f32_e32 v55, v26, v10
	v_fma_f32 v22, v29, v6, -v59
	v_fma_f32 v25, v33, v2, -v63
	v_dual_fmac_f32 v87, v36, v83 :: v_dual_add_f32 v36, v17, v45
	s_delay_alu instid0(VALU_DEP_4)
	v_dual_fmac_f32 v85, v34, v2 :: v_dual_sub_f32 v30, v55, v60
	v_fma_f32 v21, v27, v4, -v57
	v_fma_f32 v23, v31, v0, -v61
	;; [unrolled: 1-line block ×3, first 2 shown]
	v_add_f32_e32 v27, v16, v18
	v_dual_add_f32 v28, v20, v22 :: v_dual_sub_f32 v29, v45, v85
	v_dual_sub_f32 v31, v18, v20 :: v_dual_sub_f32 v34, v20, v18
	v_dual_sub_f32 v32, v25, v22 :: v_dual_sub_f32 v35, v22, v25
	v_sub_f32_e32 v54, v45, v55
	v_dual_sub_f32 v57, v85, v60 :: v_dual_sub_f32 v88, v47, v87
	v_dual_add_f32 v59, v45, v85 :: v_dual_add_f32 v92, v19, v26
	v_dual_sub_f32 v45, v55, v45 :: v_dual_add_f32 v96, v58, v62
	v_dual_add_f32 v33, v18, v25 :: v_dual_sub_f32 v46, v20, v22
	v_dual_add_f32 v39, v55, v60 :: v_dual_add_f32 v86, v21, v23
	v_sub_f32_e32 v18, v18, v25
	v_dual_sub_f32 v61, v60, v85 :: v_dual_sub_f32 v94, v23, v26
	v_dual_add_f32 v63, v37, v19 :: v_dual_sub_f32 v90, v19, v21
	v_dual_sub_f32 v89, v58, v62 :: v_dual_add_f32 v106, v47, v87
	v_dual_sub_f32 v93, v21, v19 :: v_dual_add_f32 v20, v27, v20
	v_add_f32_e32 v95, v38, v47
	v_sub_f32_e32 v19, v19, v26
	v_sub_f32_e32 v105, v87, v62
	v_fma_f32 v108, -0.5, v28, v16
	v_dual_add_f32 v28, v36, v55 :: v_dual_add_f32 v27, v31, v32
	v_add_f32_e32 v31, v54, v57
	v_fma_f32 v54, -0.5, v96, v38
	v_dual_sub_f32 v91, v26, v23 :: v_dual_sub_f32 v98, v47, v58
	v_dual_sub_f32 v97, v21, v23 :: v_dual_add_f32 v20, v20, v22
	v_fma_f32 v32, -0.5, v33, v16
	v_add_f32_e32 v16, v34, v35
	v_fma_f32 v36, -0.5, v39, v17
	v_fma_f32 v34, -0.5, v59, v17
	v_add_f32_e32 v17, v45, v61
	v_fma_f32 v33, -0.5, v86, v37
	v_dual_fmac_f32 v37, -0.5, v92 :: v_dual_fmac_f32 v38, -0.5, v106
	v_fmamk_f32 v61, v19, 0xbf737871, v54
	v_dual_fmac_f32 v54, 0x3f737871, v19 :: v_dual_add_f32 v45, v95, v58
	v_sub_f32_e32 v47, v58, v47
	v_sub_f32_e32 v107, v62, v87
	v_add_f32_e32 v21, v63, v21
	v_add_f32_e32 v55, v98, v105
	v_fmamk_f32 v58, v30, 0xbf737871, v32
	v_dual_add_f32 v22, v28, v60 :: v_dual_fmamk_f32 v57, v29, 0x3f737871, v108
	v_fmamk_f32 v28, v89, 0xbf737871, v37
	s_delay_alu instid0(VALU_DEP_3)
	v_dual_add_f32 v45, v45, v62 :: v_dual_fmac_f32 v58, 0x3f167918, v29
	v_dual_fmamk_f32 v62, v97, 0x3f737871, v38 :: v_dual_add_f32 v35, v90, v91
	v_fmac_f32_e32 v108, 0xbf737871, v29
	v_dual_fmac_f32 v32, 0x3f737871, v30 :: v_dual_add_f32 v47, v47, v107
	v_add_f32_e32 v20, v20, v25
	v_fmamk_f32 v60, v46, 0x3f737871, v34
	v_dual_fmac_f32 v34, 0xbf737871, v46 :: v_dual_add_f32 v21, v21, v23
	v_fmac_f32_e32 v108, 0xbf167918, v30
	v_dual_add_f32 v22, v22, v85 :: v_dual_fmac_f32 v57, 0x3f167918, v30
	v_fmac_f32_e32 v28, 0x3f167918, v88
	v_dual_fmac_f32 v61, 0xbf167918, v97 :: v_dual_fmac_f32 v62, 0xbf167918, v19
	v_dual_add_f32 v39, v93, v94 :: v_dual_fmac_f32 v38, 0xbf737871, v97
	v_fmamk_f32 v59, v18, 0xbf737871, v36
	v_fmac_f32_e32 v36, 0x3f737871, v18
	v_fmac_f32_e32 v60, 0xbf167918, v18
	;; [unrolled: 1-line block ×3, first 2 shown]
	v_add_f32_e32 v18, v21, v26
	v_add_f32_e32 v21, v45, v87
	v_dual_fmac_f32 v57, 0x3e9e377a, v27 :: v_dual_fmac_f32 v58, 0x3e9e377a, v16
	v_fmac_f32_e32 v62, 0x3e9e377a, v47
	v_fmamk_f32 v23, v88, 0x3f737871, v33
	v_fmac_f32_e32 v37, 0x3f737871, v89
	v_dual_fmac_f32 v32, 0xbf167918, v29 :: v_dual_fmac_f32 v59, 0xbf167918, v46
	v_fmac_f32_e32 v38, 0x3f167918, v19
	v_dual_fmac_f32 v108, 0x3e9e377a, v27 :: v_dual_sub_f32 v19, v22, v21
	v_fmac_f32_e32 v28, 0x3e9e377a, v39
	v_mul_f32_e32 v30, 0x3f737871, v62
	v_fmac_f32_e32 v33, 0xbf737871, v88
	v_dual_fmac_f32 v32, 0x3e9e377a, v16 :: v_dual_fmac_f32 v59, 0x3e9e377a, v31
	v_add_f32_e32 v16, v20, v18
	v_sub_f32_e32 v18, v20, v18
	v_fmac_f32_e32 v30, 0x3e9e377a, v28
	v_fmac_f32_e32 v37, 0xbf167918, v88
	v_dual_fmac_f32 v36, 0x3f167918, v46 :: v_dual_fmac_f32 v23, 0x3f167918, v89
	v_fmac_f32_e32 v33, 0xbf167918, v89
	v_fmac_f32_e32 v60, 0x3e9e377a, v17
	;; [unrolled: 1-line block ×3, first 2 shown]
	v_dual_add_f32 v17, v22, v21 :: v_dual_fmac_f32 v38, 0x3e9e377a, v47
	v_fmac_f32_e32 v37, 0x3e9e377a, v39
	v_fmac_f32_e32 v23, 0x3e9e377a, v35
	;; [unrolled: 1-line block ×3, first 2 shown]
	v_mad_co_u64_u32 v[40:41], null, 0x48, v53, s[2:3]
	v_dual_mul_f32 v22, 0x3e9e377a, v38 :: v_dual_fmac_f32 v61, 0x3e9e377a, v55
	v_mul_f32_e32 v20, 0x3e9e377a, v37
	s_delay_alu instid0(VALU_DEP_2) | instskip(SKIP_1) | instid1(VALU_DEP_3)
	v_fma_f32 v37, 0xbf737871, v37, -v22
	v_mul_f32_e32 v39, 0xbf167918, v23
	v_fma_f32 v35, 0x3f737871, v38, -v20
	v_fmac_f32_e32 v54, 0x3f167918, v97
	v_mul_f32_e32 v29, 0x3f167918, v61
	v_add_f32_e32 v26, v34, v37
	v_fmac_f32_e32 v39, 0x3f4f1bbd, v61
	v_mul_f32_e32 v21, 0x3f4f1bbd, v33
	v_fmac_f32_e32 v54, 0x3e9e377a, v55
	v_dual_fmac_f32 v29, 0x3f4f1bbd, v23 :: v_dual_sub_f32 v34, v34, v37
	s_delay_alu instid0(VALU_DEP_2) | instskip(NEXT) | instid1(VALU_DEP_2)
	v_fma_f32 v38, 0x3f167918, v54, -v21
	v_add_f32_e32 v20, v57, v29
	v_sub_f32_e32 v29, v57, v29
	v_dual_add_f32 v21, v59, v39 :: v_dual_add_f32 v22, v58, v30
	s_delay_alu instid0(VALU_DEP_4) | instskip(SKIP_2) | instid1(VALU_DEP_2)
	v_add_f32_e32 v27, v108, v38
	v_mul_f32_e32 v45, 0xbf737871, v28
	v_dual_fmac_f32 v36, 0x3e9e377a, v31 :: v_dual_sub_f32 v31, v58, v30
	v_dual_sub_f32 v30, v59, v39 :: v_dual_fmac_f32 v45, 0x3e9e377a, v62
	s_delay_alu instid0(VALU_DEP_1) | instskip(SKIP_1) | instid1(VALU_DEP_1)
	v_add_f32_e32 v23, v60, v45
	v_mul_f32_e32 v25, 0x3f4f1bbd, v54
	v_fma_f32 v46, 0xbf167918, v33, -v25
	v_add_f32_e32 v25, v32, v35
	v_sub_f32_e32 v33, v32, v35
	v_sub_f32_e32 v32, v60, v45
	;; [unrolled: 1-line block ×3, first 2 shown]
	v_add_f32_e32 v28, v36, v46
	v_sub_f32_e32 v36, v36, v46
	ds_store_2addr_b64 v101, v[16:17], v[20:21] offset1:4
	ds_store_2addr_b64 v101, v[22:23], v[25:26] offset0:8 offset1:12
	ds_store_2addr_b64 v101, v[27:28], v[18:19] offset0:16 offset1:20
	;; [unrolled: 1-line block ×4, first 2 shown]
	global_wb scope:SCOPE_SE
	s_wait_dscnt 0x0
	s_barrier_signal -1
	s_barrier_wait -1
	global_inv scope:SCOPE_SE
	s_clause 0x4
	global_load_b128 v[36:39], v[40:41], off offset:288
	global_load_b128 v[32:35], v[40:41], off offset:304
	;; [unrolled: 1-line block ×4, first 2 shown]
	global_load_b64 v[85:86], v[40:41], off offset:352
	v_and_b32_e32 v25, 0xffff, v43
	ds_load_2addr_b64 v[20:23], v99 offset1:240
	ds_load_2addr_b64 v[40:43], v42 offset1:240
	ds_load_2addr_b64 v[44:47], v44 offset1:240
	ds_load_2addr_b64 v[56:59], v56 offset1:240
	s_wait_loadcnt_dscnt 0x403
	v_mul_f32_e32 v26, v22, v37
	s_wait_dscnt 0x2
	v_mul_f32_e32 v60, v41, v39
	s_wait_loadcnt_dscnt 0x201
	v_mul_f32_e32 v90, v47, v29
	v_mul_u32_u24_e32 v25, 0x190, v25
	s_wait_loadcnt_dscnt 0x100
	v_dual_mul_f32 v63, v43, v33 :: v_dual_mul_f32 v96, v57, v19
	v_mul_f32_e32 v88, v45, v35
	s_wait_loadcnt 0x0
	v_dual_mul_f32 v89, v44, v35 :: v_dual_mul_f32 v106, v58, v86
	v_add_lshl_u32 v105, v25, v53, 3
	ds_load_2addr_b64 v[52:55], v52 offset1:240
	v_mul_f32_e32 v25, v23, v37
	v_mul_f32_e32 v61, v40, v39
	v_dual_mul_f32 v87, v42, v33 :: v_dual_mul_f32 v98, v59, v86
	v_add_nc_u32_e32 v27, 0x400, v105
	v_dual_mul_f32 v91, v46, v29 :: v_dual_fmac_f32 v26, v23, v36
	v_fma_f32 v23, v42, v32, -v63
	v_fmac_f32_e32 v106, v59, v85
	v_add_nc_u32_e32 v62, 0x800, v105
	global_wb scope:SCOPE_SE
	s_wait_dscnt 0x0
	s_barrier_signal -1
	s_barrier_wait -1
	global_inv scope:SCOPE_SE
	v_mul_f32_e32 v92, v53, v31
	v_dual_mul_f32 v93, v52, v31 :: v_dual_mul_f32 v94, v55, v17
	v_fma_f32 v25, v22, v36, -v25
	v_fma_f32 v22, v40, v38, -v60
	v_mul_f32_e32 v95, v54, v17
	v_fma_f32 v40, v44, v34, -v88
	v_mul_f32_e32 v97, v56, v19
	v_fma_f32 v42, v52, v30, -v92
	v_fma_f32 v44, v56, v18, -v96
	v_fmac_f32_e32 v61, v41, v38
	v_fmac_f32_e32 v89, v45, v34
	v_fma_f32 v41, v46, v28, -v90
	v_fmac_f32_e32 v93, v53, v30
	v_fma_f32 v45, v58, v85, -v98
	v_add_f32_e32 v46, v20, v22
	v_add_f32_e32 v56, v22, v44
	v_fmac_f32_e32 v87, v43, v32
	v_fma_f32 v43, v54, v16, -v94
	v_sub_f32_e32 v54, v22, v40
	v_sub_f32_e32 v58, v42, v44
	v_dual_fmac_f32 v95, v55, v16 :: v_dual_sub_f32 v88, v61, v89
	v_fmac_f32_e32 v97, v57, v18
	v_dual_sub_f32 v57, v40, v22 :: v_dual_sub_f32 v22, v22, v44
	v_dual_fmac_f32 v91, v47, v28 :: v_dual_add_f32 v60, v89, v93
	s_delay_alu instid0(VALU_DEP_4) | instskip(SKIP_1) | instid1(VALU_DEP_3)
	v_dual_add_f32 v59, v21, v61 :: v_dual_sub_f32 v118, v106, v95
	v_dual_sub_f32 v63, v40, v42 :: v_dual_add_f32 v96, v25, v23
	v_dual_sub_f32 v108, v91, v95 :: v_dual_add_f32 v47, v40, v42
	v_sub_f32_e32 v90, v97, v93
	v_dual_sub_f32 v52, v61, v97 :: v_dual_sub_f32 v55, v44, v42
	v_add_f32_e32 v92, v61, v97
	v_dual_add_f32 v111, v23, v45 :: v_dual_sub_f32 v112, v41, v23
	v_dual_sub_f32 v113, v43, v45 :: v_dual_sub_f32 v116, v41, v43
	v_dual_add_f32 v115, v91, v95 :: v_dual_add_f32 v40, v46, v40
	v_add_f32_e32 v119, v87, v106
	v_dual_sub_f32 v53, v89, v93 :: v_dual_add_f32 v114, v26, v87
	v_dual_sub_f32 v61, v89, v61 :: v_dual_sub_f32 v120, v95, v106
	v_sub_f32_e32 v94, v93, v97
	v_dual_add_f32 v98, v41, v43 :: v_dual_sub_f32 v107, v87, v106
	v_dual_sub_f32 v109, v23, v41 :: v_dual_sub_f32 v110, v45, v43
	v_sub_f32_e32 v117, v87, v91
	v_fma_f32 v46, -0.5, v47, v20
	v_add_f32_e32 v47, v54, v55
	v_fma_f32 v54, -0.5, v56, v20
	v_add_f32_e32 v55, v59, v89
	;; [unrolled: 2-line block ×3, first 2 shown]
	v_fma_f32 v59, -0.5, v92, v21
	v_dual_add_f32 v41, v96, v41 :: v_dual_fmamk_f32 v92, v53, 0xbf737871, v54
	v_add_f32_e32 v60, v112, v113
	v_fma_f32 v88, -0.5, v115, v26
	v_dual_fmac_f32 v26, -0.5, v119 :: v_dual_sub_f32 v23, v23, v45
	v_dual_add_f32 v20, v57, v58 :: v_dual_sub_f32 v87, v91, v87
	v_add_f32_e32 v58, v109, v110
	v_add_f32_e32 v21, v61, v94
	v_fma_f32 v57, -0.5, v98, v25
	v_dual_fmac_f32 v25, -0.5, v111 :: v_dual_add_f32 v40, v40, v42
	v_dual_add_f32 v61, v114, v91 :: v_dual_fmac_f32 v54, 0x3f737871, v53
	v_dual_fmamk_f32 v91, v52, 0x3f737871, v46 :: v_dual_add_f32 v42, v55, v93
	v_dual_fmac_f32 v46, 0xbf737871, v52 :: v_dual_fmamk_f32 v55, v22, 0xbf737871, v89
	v_fmac_f32_e32 v89, 0x3f737871, v22
	v_dual_fmamk_f32 v93, v63, 0x3f737871, v59 :: v_dual_fmamk_f32 v96, v116, 0x3f737871, v26
	v_dual_fmac_f32 v59, 0xbf737871, v63 :: v_dual_add_f32 v40, v40, v44
	s_delay_alu instid0(VALU_DEP_4)
	v_dual_add_f32 v41, v41, v43 :: v_dual_fmac_f32 v46, 0xbf167918, v53
	v_dual_add_f32 v87, v87, v120 :: v_dual_fmamk_f32 v94, v108, 0xbf737871, v25
	v_dual_fmamk_f32 v43, v107, 0x3f737871, v57 :: v_dual_add_f32 v42, v42, v97
	v_fmac_f32_e32 v57, 0xbf737871, v107
	v_dual_add_f32 v61, v61, v95 :: v_dual_fmac_f32 v92, 0x3f167918, v52
	v_fmac_f32_e32 v26, 0xbf737871, v116
	v_dual_fmac_f32 v93, 0xbf167918, v22 :: v_dual_fmac_f32 v96, 0xbf167918, v23
	v_dual_fmac_f32 v59, 0x3f167918, v22 :: v_dual_add_f32 v22, v41, v45
	s_delay_alu instid0(VALU_DEP_3)
	v_fmac_f32_e32 v26, 0x3f167918, v23
	v_fmamk_f32 v95, v23, 0xbf737871, v88
	v_fmac_f32_e32 v88, 0x3f737871, v23
	v_fmac_f32_e32 v89, 0x3f167918, v63
	v_dual_fmac_f32 v91, 0x3f167918, v53 :: v_dual_fmac_f32 v94, 0x3f167918, v107
	v_dual_fmac_f32 v54, 0xbf167918, v52 :: v_dual_fmac_f32 v55, 0xbf167918, v63
	s_delay_alu instid0(VALU_DEP_4) | instskip(NEXT) | instid1(VALU_DEP_4)
	v_fmac_f32_e32 v88, 0x3f167918, v116
	v_dual_fmac_f32 v89, 0x3e9e377a, v56 :: v_dual_fmac_f32 v96, 0x3e9e377a, v87
	v_add_f32_e32 v90, v117, v118
	s_delay_alu instid0(VALU_DEP_4) | instskip(SKIP_1) | instid1(VALU_DEP_4)
	v_dual_fmac_f32 v54, 0x3e9e377a, v20 :: v_dual_fmac_f32 v93, 0x3e9e377a, v21
	v_dual_fmac_f32 v59, 0x3e9e377a, v21 :: v_dual_fmac_f32 v94, 0x3e9e377a, v60
	v_mul_f32_e32 v53, 0x3f737871, v96
	v_fmac_f32_e32 v25, 0x3f737871, v108
	v_dual_fmac_f32 v91, 0x3e9e377a, v47 :: v_dual_fmac_f32 v92, 0x3e9e377a, v20
	v_dual_fmac_f32 v55, 0x3e9e377a, v56 :: v_dual_fmac_f32 v88, 0x3e9e377a, v90
	v_add_f32_e32 v20, v40, v22
	v_dual_sub_f32 v22, v40, v22 :: v_dual_fmac_f32 v95, 0xbf167918, v116
	v_fmac_f32_e32 v53, 0x3e9e377a, v94
	v_fmac_f32_e32 v43, 0x3f167918, v108
	v_dual_add_f32 v41, v61, v106 :: v_dual_fmac_f32 v46, 0x3e9e377a, v47
	s_delay_alu instid0(VALU_DEP_4) | instskip(SKIP_3) | instid1(VALU_DEP_4)
	v_fmac_f32_e32 v95, 0x3e9e377a, v90
	v_fmac_f32_e32 v25, 0xbf167918, v107
	;; [unrolled: 1-line block ×3, first 2 shown]
	v_dual_fmac_f32 v43, 0x3e9e377a, v58 :: v_dual_fmac_f32 v26, 0x3e9e377a, v87
	v_dual_mul_f32 v47, 0x3f167918, v95 :: v_dual_sub_f32 v56, v92, v53
	s_delay_alu instid0(VALU_DEP_4) | instskip(SKIP_1) | instid1(VALU_DEP_4)
	v_fmac_f32_e32 v25, 0x3e9e377a, v60
	v_dual_add_f32 v21, v42, v41 :: v_dual_mul_f32 v44, 0x3f4f1bbd, v88
	v_dual_sub_f32 v23, v42, v41 :: v_dual_mul_f32 v42, 0x3e9e377a, v26
	s_delay_alu instid0(VALU_DEP_3) | instskip(SKIP_3) | instid1(VALU_DEP_4)
	v_dual_fmac_f32 v57, 0x3e9e377a, v58 :: v_dual_mul_f32 v40, 0x3e9e377a, v25
	v_mul_f32_e32 v61, 0xbf167918, v43
	v_fmac_f32_e32 v47, 0x3f4f1bbd, v43
	v_mul_f32_e32 v63, 0xbf737871, v94
	v_mul_f32_e32 v41, 0x3f4f1bbd, v57
	v_fma_f32 v58, 0x3f737871, v26, -v40
	v_fma_f32 v87, 0xbf737871, v25, -v42
	v_sub_f32_e32 v52, v91, v47
	v_fmac_f32_e32 v61, 0x3f4f1bbd, v95
	v_fmac_f32_e32 v63, 0x3e9e377a, v96
	v_fma_f32 v60, 0x3f167918, v88, -v41
	v_fma_f32 v88, 0xbf167918, v57, -v44
	v_add_f32_e32 v25, v91, v47
	v_add_f32_e32 v26, v55, v61
	;; [unrolled: 1-line block ×3, first 2 shown]
	v_dual_add_f32 v42, v54, v58 :: v_dual_add_f32 v41, v93, v63
	v_dual_add_f32 v43, v59, v87 :: v_dual_add_f32 v44, v46, v60
	v_sub_f32_e32 v60, v46, v60
	v_add_f32_e32 v45, v89, v88
	v_sub_f32_e32 v53, v55, v61
	v_dual_sub_f32 v57, v93, v63 :: v_dual_sub_f32 v58, v54, v58
	v_sub_f32_e32 v59, v59, v87
	v_sub_f32_e32 v61, v89, v88
	ds_store_2addr_b64 v105, v[20:21], v[25:26] offset1:40
	ds_store_2addr_b64 v105, v[40:41], v[42:43] offset0:80 offset1:120
	ds_store_2addr_b64 v105, v[44:45], v[22:23] offset0:160 offset1:200
	;; [unrolled: 1-line block ×4, first 2 shown]
	global_wb scope:SCOPE_SE
	s_wait_dscnt 0x0
	s_barrier_signal -1
	s_barrier_wait -1
	global_inv scope:SCOPE_SE
	ds_load_b64 v[54:55], v99
	ds_load_b64 v[97:98], v99 offset:3200
	ds_load_b64 v[95:96], v99 offset:6400
	;; [unrolled: 1-line block ×5, first 2 shown]
	s_and_saveexec_b32 s1, s0
	s_cbranch_execz .LBB0_9
; %bb.8:
	ds_load_b64 v[52:53], v99 offset:1920
	ds_load_b64 v[56:57], v99 offset:5120
	;; [unrolled: 1-line block ×6, first 2 shown]
.LBB0_9:
	s_wait_alu 0xfffe
	s_or_b32 exec_lo, exec_lo, s1
	v_mad_co_u64_u32 v[20:21], null, v100, 40, s[2:3]
	s_clause 0x2
	global_load_b128 v[44:47], v[20:21], off offset:3168
	global_load_b128 v[40:43], v[20:21], off offset:3184
	global_load_b64 v[89:90], v[20:21], off offset:3200
	s_wait_loadcnt_dscnt 0x204
	v_dual_mul_f32 v107, v97, v45 :: v_dual_add_nc_u32 v20, 0xffffff60, v100
	s_delay_alu instid0(VALU_DEP_1)
	v_cndmask_b32_e64 v20, v20, v24, s0
	s_wait_dscnt 0x3
	v_dual_mul_f32 v106, v98, v45 :: v_dual_mul_f32 v109, v95, v47
	s_wait_loadcnt_dscnt 0x102
	v_dual_mul_f32 v108, v96, v47 :: v_dual_mul_f32 v111, v93, v41
	v_mul_i32_i24_e32 v21, 40, v20
	v_mul_hi_i32_i24_e32 v20, 40, v20
	s_wait_loadcnt_dscnt 0x0
	v_dual_mul_f32 v112, v92, v43 :: v_dual_mul_f32 v115, v62, v90
	v_dual_mul_f32 v110, v94, v41 :: v_dual_mul_f32 v113, v91, v43
	v_add_co_u32 v87, s1, s2, v21
	s_wait_alu 0xf1ff
	v_add_co_ci_u32_e64 v88, s1, s3, v20, s1
	v_dual_mul_f32 v114, v63, v90 :: v_dual_fmac_f32 v107, v98, v44
	s_clause 0x2
	global_load_b128 v[24:27], v[87:88], off offset:3168
	global_load_b128 v[20:23], v[87:88], off offset:3184
	global_load_b64 v[87:88], v[87:88], off offset:3200
	v_fma_f32 v95, v95, v46, -v108
	v_fma_f32 v91, v91, v42, -v112
	v_fmac_f32_e32 v109, v96, v46
	v_fma_f32 v97, v97, v44, -v106
	v_fma_f32 v93, v93, v40, -v110
	v_fmac_f32_e32 v113, v92, v42
	v_fma_f32 v62, v62, v89, -v114
	v_fmac_f32_e32 v115, v63, v89
	v_add_f32_e32 v92, v95, v91
	v_dual_add_f32 v96, v55, v109 :: v_dual_fmac_f32 v111, v94, v40
	v_dual_sub_f32 v94, v109, v113 :: v_dual_add_f32 v63, v54, v95
	v_dual_add_f32 v98, v109, v113 :: v_dual_sub_f32 v95, v95, v91
	v_add_f32_e32 v106, v97, v93
	s_delay_alu instid0(VALU_DEP_4)
	v_dual_add_f32 v108, v93, v62 :: v_dual_sub_f32 v109, v111, v115
	v_dual_add_f32 v110, v107, v111 :: v_dual_sub_f32 v93, v93, v62
	v_add_f32_e32 v111, v111, v115
	v_add_f32_e32 v63, v63, v91
	v_fma_f32 v124, -0.5, v92, v54
	v_add_f32_e32 v54, v96, v113
	v_dual_add_f32 v62, v106, v62 :: v_dual_fmac_f32 v97, -0.5, v108
	s_wait_loadcnt 0x2
	v_dual_add_f32 v91, v110, v115 :: v_dual_mul_f32 v112, v57, v25
	s_wait_loadcnt 0x1
	v_dual_mul_f32 v116, v59, v27 :: v_dual_mul_f32 v119, v60, v21
	v_dual_mul_f32 v114, v56, v25 :: v_dual_mul_f32 v117, v58, v27
	v_mul_f32_e32 v118, v61, v21
	s_wait_loadcnt 0x0
	v_dual_mul_f32 v120, v49, v23 :: v_dual_mul_f32 v123, v50, v88
	v_dual_mul_f32 v121, v48, v23 :: v_dual_mul_f32 v122, v51, v88
	v_dual_fmac_f32 v55, -0.5, v98 :: v_dual_fmac_f32 v114, v57, v24
	v_fmac_f32_e32 v107, -0.5, v111
	v_fma_f32 v96, v56, v24, -v112
	v_fma_f32 v56, v58, v26, -v116
	v_fmamk_f32 v58, v94, 0x3f5db3d7, v124
	v_fma_f32 v57, v60, v20, -v118
	v_fma_f32 v48, v48, v22, -v120
	v_fmac_f32_e32 v121, v49, v22
	v_fma_f32 v50, v50, v87, -v122
	v_fmac_f32_e32 v124, 0xbf5db3d7, v94
	v_dual_fmac_f32 v117, v59, v26 :: v_dual_add_f32 v60, v54, v91
	v_fmac_f32_e32 v119, v61, v20
	v_dual_fmamk_f32 v94, v95, 0xbf5db3d7, v55 :: v_dual_add_f32 v49, v52, v56
	v_dual_fmac_f32 v55, 0x3f5db3d7, v95 :: v_dual_add_f32 v98, v57, v50
	v_dual_fmamk_f32 v92, v109, 0x3f5db3d7, v97 :: v_dual_add_f32 v59, v63, v62
	v_dual_sub_f32 v61, v63, v62 :: v_dual_sub_f32 v62, v54, v91
	v_dual_fmamk_f32 v95, v93, 0xbf5db3d7, v107 :: v_dual_add_f32 v108, v114, v119
	v_dual_fmac_f32 v123, v51, v87 :: v_dual_add_f32 v54, v53, v117
	s_delay_alu instid0(VALU_DEP_2) | instskip(SKIP_1) | instid1(VALU_DEP_3)
	v_dual_fmac_f32 v107, 0x3f5db3d7, v93 :: v_dual_mul_f32 v110, 0x3f5db3d7, v95
	v_add_f32_e32 v51, v56, v48
	v_dual_fmac_f32 v97, 0xbf5db3d7, v109 :: v_dual_sub_f32 v106, v119, v123
	s_delay_alu instid0(VALU_DEP_3)
	v_dual_add_f32 v109, v119, v123 :: v_dual_fmac_f32 v110, 0.5, v92
	v_sub_f32_e32 v93, v56, v48
	v_add_f32_e32 v56, v96, v57
	v_dual_add_f32 v91, v117, v121 :: v_dual_fmac_f32 v96, -0.5, v98
	v_dual_sub_f32 v63, v117, v121 :: v_dual_fmac_f32 v52, -0.5, v51
	v_sub_f32_e32 v57, v57, v50
	v_dual_mul_f32 v111, -0.5, v97 :: v_dual_add_f32 v48, v49, v48
	v_dual_add_f32 v49, v54, v121 :: v_dual_add_f32 v50, v56, v50
	v_fmac_f32_e32 v114, -0.5, v109
	v_dual_fmamk_f32 v54, v63, 0x3f5db3d7, v52 :: v_dual_fmac_f32 v53, -0.5, v91
	v_mul_f32_e32 v113, 0xbf5db3d7, v92
	v_mul_f32_e32 v115, -0.5, v107
	v_add_f32_e32 v51, v108, v123
	v_fmac_f32_e32 v52, 0xbf5db3d7, v63
	v_fmac_f32_e32 v111, 0x3f5db3d7, v107
	v_fmamk_f32 v56, v93, 0xbf5db3d7, v53
	v_fmamk_f32 v63, v106, 0x3f5db3d7, v96
	v_fmac_f32_e32 v96, 0xbf5db3d7, v106
	v_add_f32_e32 v106, v58, v110
	v_dual_sub_f32 v110, v58, v110 :: v_dual_fmac_f32 v53, 0x3f5db3d7, v93
	v_dual_sub_f32 v112, v124, v111 :: v_dual_fmamk_f32 v93, v57, 0xbf5db3d7, v114
	v_dual_fmac_f32 v114, 0x3f5db3d7, v57 :: v_dual_fmac_f32 v113, 0.5, v95
	v_dual_add_f32 v108, v124, v111 :: v_dual_fmac_f32 v115, 0xbf5db3d7, v97
	v_sub_f32_e32 v92, v49, v51
	s_delay_alu instid0(VALU_DEP_3) | instskip(SKIP_3) | instid1(VALU_DEP_4)
	v_mul_f32_e32 v116, -0.5, v114
	v_sub_f32_e32 v91, v48, v50
	v_add_f32_e32 v107, v94, v113
	v_mul_f32_e32 v95, -0.5, v96
	v_dual_sub_f32 v111, v94, v113 :: v_dual_fmac_f32 v116, 0xbf5db3d7, v96
	v_sub_f32_e32 v113, v55, v115
	s_delay_alu instid0(VALU_DEP_2) | instskip(SKIP_2) | instid1(VALU_DEP_2)
	v_dual_fmac_f32 v95, 0x3f5db3d7, v114 :: v_dual_add_f32 v94, v53, v116
	v_mul_f32_e32 v58, 0xbf5db3d7, v63
	v_dual_mul_f32 v57, 0x3f5db3d7, v93 :: v_dual_sub_f32 v96, v53, v116
	v_dual_add_f32 v109, v55, v115 :: v_dual_fmac_f32 v58, 0.5, v93
	s_delay_alu instid0(VALU_DEP_2) | instskip(SKIP_2) | instid1(VALU_DEP_3)
	v_fmac_f32_e32 v57, 0.5, v63
	v_add_f32_e32 v93, v52, v95
	v_sub_f32_e32 v95, v52, v95
	v_dual_sub_f32 v98, v56, v58 :: v_dual_sub_f32 v97, v54, v57
	ds_store_b64 v99, v[59:60]
	ds_store_b64 v99, v[106:107] offset:3200
	ds_store_b64 v99, v[108:109] offset:6400
	;; [unrolled: 1-line block ×5, first 2 shown]
	s_and_saveexec_b32 s1, s0
	s_cbranch_execz .LBB0_11
; %bb.10:
	v_dual_add_f32 v52, v56, v58 :: v_dual_add_f32 v49, v49, v51
	v_dual_add_f32 v48, v48, v50 :: v_dual_add_f32 v51, v54, v57
	ds_store_b64 v99, v[48:49] offset:1920
	ds_store_b64 v99, v[51:52] offset:5120
	;; [unrolled: 1-line block ×6, first 2 shown]
.LBB0_11:
	s_wait_alu 0xfffe
	s_or_b32 exec_lo, exec_lo, s1
	s_add_nc_u64 s[2:3], s[16:17], 0x4b00
	global_wb scope:SCOPE_SE
	s_wait_dscnt 0x0
	s_barrier_signal -1
	s_barrier_wait -1
	global_inv scope:SCOPE_SE
	s_clause 0x7
	global_load_b64 v[53:54], v[65:66], off offset:19200
	global_load_b64 v[62:63], v99, s[2:3] offset:6720
	global_load_b64 v[55:56], v99, s[2:3] offset:1920
	global_load_b64 v[110:111], v99, s[2:3] offset:4800
	global_load_b64 v[112:113], v99, s[2:3] offset:9600
	global_load_b64 v[114:115], v99, s[2:3] offset:14400
	global_load_b64 v[116:117], v99, s[2:3] offset:16320
	global_load_b64 v[118:119], v99, s[2:3] offset:11520
	ds_load_2addr_b64 v[48:51], v99 offset1:240
	s_wait_loadcnt_dscnt 0x700
	v_dual_mul_f32 v57, v49, v54 :: v_dual_add_nc_u32 v52, 0x1280, v99
	s_wait_loadcnt 0x5
	v_dual_mul_f32 v59, v48, v54 :: v_dual_mul_f32 v60, v51, v56
	v_mul_f32_e32 v54, v50, v56
	v_add_nc_u32_e32 v56, 0x3800, v99
	v_fma_f32 v58, v48, v53, -v57
	s_delay_alu instid0(VALU_DEP_4)
	v_fmac_f32_e32 v59, v49, v53
	v_add_nc_u32_e32 v57, 0x2580, v99
	v_fma_f32 v53, v50, v55, -v60
	v_fmac_f32_e32 v54, v51, v55
	ds_store_b64 v99, v[58:59]
	ds_load_2addr_b64 v[48:51], v52 offset0:8 offset1:248
	ds_load_2addr_b64 v[58:61], v57 offset1:240
	ds_load_2addr_b64 v[106:109], v56 offset0:8 offset1:248
	s_wait_loadcnt_dscnt 0x402
	v_mul_f32_e32 v55, v49, v111
	s_wait_loadcnt_dscnt 0x301
	v_dual_mul_f32 v120, v48, v111 :: v_dual_mul_f32 v111, v58, v113
	v_mul_f32_e32 v121, v59, v113
	v_mul_f32_e32 v124, v51, v63
	s_wait_loadcnt_dscnt 0x100
	v_dual_mul_f32 v122, v108, v117 :: v_dual_mul_f32 v113, v106, v115
	v_fmac_f32_e32 v111, v59, v112
	v_dual_mul_f32 v123, v107, v115 :: v_dual_fmac_f32 v120, v49, v110
	v_mul_f32_e32 v115, v50, v63
	s_wait_loadcnt 0x0
	v_mul_f32_e32 v63, v60, v119
	v_mul_f32_e32 v125, v61, v119
	;; [unrolled: 1-line block ×3, first 2 shown]
	v_fma_f32 v119, v48, v110, -v55
	v_fma_f32 v110, v58, v112, -v121
	;; [unrolled: 1-line block ×3, first 2 shown]
	v_fmac_f32_e32 v115, v51, v62
	v_fmac_f32_e32 v63, v61, v118
	v_dual_fmac_f32 v122, v109, v116 :: v_dual_fmac_f32 v113, v107, v114
	v_fma_f32 v114, v50, v62, -v124
	v_fma_f32 v62, v60, v118, -v125
	;; [unrolled: 1-line block ×3, first 2 shown]
	ds_store_b64 v99, v[53:54] offset:1920
	ds_store_2addr_b64 v52, v[119:120], v[114:115] offset0:8 offset1:248
	ds_store_2addr_b64 v57, v[110:111], v[62:63] offset1:240
	ds_store_2addr_b64 v56, v[112:113], v[121:122] offset0:8 offset1:248
	s_and_saveexec_b32 s1, vcc_lo
	s_cbranch_execz .LBB0_13
; %bb.12:
	s_wait_alu 0xfffe
	v_add_co_u32 v48, s2, s2, v99
	s_wait_alu 0xf1ff
	v_add_co_ci_u32_e64 v49, null, s3, 0, s2
	s_clause 0x3
	global_load_b64 v[50:51], v[48:49], off offset:3840
	global_load_b64 v[53:54], v[48:49], off offset:8640
	;; [unrolled: 1-line block ×4, first 2 shown]
	ds_load_b64 v[60:61], v99 offset:3840
	ds_load_b64 v[62:63], v99 offset:8640
	;; [unrolled: 1-line block ×4, first 2 shown]
	s_wait_loadcnt_dscnt 0x303
	v_mul_f32_e32 v110, v61, v51
	s_wait_loadcnt_dscnt 0x202
	v_dual_mul_f32 v55, v60, v51 :: v_dual_mul_f32 v112, v63, v54
	v_mul_f32_e32 v51, v62, v54
	s_wait_loadcnt_dscnt 0x0
	v_dual_mul_f32 v113, v107, v59 :: v_dual_mul_f32 v114, v109, v49
	v_mul_f32_e32 v111, v106, v59
	v_mul_f32_e32 v59, v108, v49
	v_fma_f32 v54, v60, v50, -v110
	v_fmac_f32_e32 v55, v61, v50
	v_fma_f32 v50, v62, v53, -v112
	v_fmac_f32_e32 v51, v63, v53
	;; [unrolled: 2-line block ×4, first 2 shown]
	ds_store_b64 v99, v[54:55] offset:3840
	ds_store_b64 v99, v[50:51] offset:8640
	ds_store_b64 v99, v[110:111] offset:13440
	ds_store_b64 v99, v[58:59] offset:18240
.LBB0_13:
	s_wait_alu 0xfffe
	s_or_b32 exec_lo, exec_lo, s1
	global_wb scope:SCOPE_SE
	s_wait_dscnt 0x0
	s_barrier_signal -1
	s_barrier_wait -1
	global_inv scope:SCOPE_SE
	ds_load_2addr_b64 v[48:51], v99 offset1:240
	ds_load_2addr_b64 v[52:55], v52 offset0:8 offset1:248
	ds_load_2addr_b64 v[60:63], v57 offset1:240
	ds_load_2addr_b64 v[56:59], v56 offset0:8 offset1:248
	s_and_saveexec_b32 s1, vcc_lo
	s_cbranch_execz .LBB0_15
; %bb.14:
	ds_load_b64 v[93:94], v99 offset:3840
	ds_load_b64 v[91:92], v99 offset:8640
	;; [unrolled: 1-line block ×4, first 2 shown]
.LBB0_15:
	s_wait_alu 0xfffe
	s_or_b32 exec_lo, exec_lo, s1
	s_wait_dscnt 0x1
	v_dual_sub_f32 v107, v48, v60 :: v_dual_sub_f32 v108, v49, v61
	s_wait_dscnt 0x0
	v_dual_sub_f32 v106, v52, v56 :: v_dual_sub_f32 v61, v53, v57
	v_dual_sub_f32 v112, v50, v62 :: v_dual_sub_f32 v113, v51, v63
	s_delay_alu instid0(VALU_DEP_3) | instskip(NEXT) | instid1(VALU_DEP_3)
	v_fma_f32 v48, v48, 2.0, -v107
	v_fma_f32 v52, v52, 2.0, -v106
	;; [unrolled: 1-line block ×4, first 2 shown]
	v_sub_f32_e32 v109, v54, v58
	v_fma_f32 v50, v50, 2.0, -v112
	v_sub_f32_e32 v56, v48, v52
	s_delay_alu instid0(VALU_DEP_4) | instskip(SKIP_1) | instid1(VALU_DEP_3)
	v_dual_sub_f32 v52, v55, v59 :: v_dual_sub_f32 v57, v49, v53
	v_dual_add_f32 v58, v107, v61 :: v_dual_sub_f32 v59, v108, v106
	v_fma_f32 v60, v48, 2.0, -v56
	v_fma_f32 v48, v54, 2.0, -v109
	;; [unrolled: 1-line block ×6, first 2 shown]
	v_sub_f32_e32 v106, v50, v48
	s_delay_alu instid0(VALU_DEP_4) | instskip(SKIP_2) | instid1(VALU_DEP_4)
	v_dual_add_f32 v108, v112, v52 :: v_dual_sub_f32 v107, v51, v53
	v_dual_sub_f32 v53, v94, v98 :: v_dual_sub_f32 v52, v93, v97
	v_sub_f32_e32 v95, v91, v95
	v_fma_f32 v110, v50, 2.0, -v106
	v_dual_sub_f32 v50, v92, v96 :: v_dual_sub_f32 v109, v113, v109
	v_fma_f32 v61, v49, 2.0, -v57
	v_fma_f32 v54, v93, 2.0, -v52
	;; [unrolled: 1-line block ×6, first 2 shown]
	v_dual_add_f32 v50, v50, v52 :: v_dual_sub_f32 v51, v53, v95
	s_delay_alu instid0(VALU_DEP_3)
	v_dual_sub_f32 v48, v54, v48 :: v_dual_sub_f32 v49, v55, v49
	v_fma_f32 v112, v112, 2.0, -v108
	v_fma_f32 v113, v113, 2.0, -v109
	global_wb scope:SCOPE_SE
	s_barrier_signal -1
	s_barrier_wait -1
	global_inv scope:SCOPE_SE
	ds_store_b128 v103, v[60:63]
	ds_store_b128 v103, v[56:59] offset:16
	ds_store_b128 v104, v[110:113]
	ds_store_b128 v104, v[106:109] offset:16
	s_and_saveexec_b32 s1, vcc_lo
	s_cbranch_execz .LBB0_17
; %bb.16:
	v_fma_f32 v57, v53, 2.0, -v51
	v_fma_f32 v56, v52, 2.0, -v50
	;; [unrolled: 1-line block ×4, first 2 shown]
	ds_store_b128 v102, v[54:57]
	ds_store_b128 v102, v[48:51] offset:16
.LBB0_17:
	s_wait_alu 0xfffe
	s_or_b32 exec_lo, exec_lo, s1
	global_wb scope:SCOPE_SE
	s_wait_dscnt 0x0
	s_barrier_signal -1
	s_barrier_wait -1
	global_inv scope:SCOPE_SE
	ds_load_2addr_b64 v[52:55], v99 offset1:240
	v_add_nc_u32_e32 v102, 0xf00, v99
	v_add_nc_u32_e32 v103, 0x1e00, v99
	s_wait_dscnt 0x0
	v_mul_f32_e32 v107, v13, v55
	v_mul_f32_e32 v13, v13, v54
	ds_load_2addr_b64 v[56:59], v102 offset1:240
	ds_load_2addr_b64 v[60:63], v103 offset1:240
	v_add_nc_u32_e32 v104, 0x2d00, v99
	v_dual_fmac_f32 v107, v12, v54 :: v_dual_add_nc_u32 v106, 0x3c00, v99
	v_fma_f32 v12, v12, v55, -v13
	ds_load_2addr_b64 v[91:94], v104 offset1:240
	s_wait_dscnt 0x2
	v_mul_f32_e32 v13, v15, v57
	ds_load_2addr_b64 v[95:98], v106 offset1:240
	v_dual_mul_f32 v15, v15, v56 :: v_dual_mul_f32 v54, v9, v59
	v_mul_f32_e32 v9, v9, v58
	s_wait_dscnt 0x2
	v_dual_mul_f32 v55, v11, v61 :: v_dual_mul_f32 v108, v5, v63
	s_delay_alu instid0(VALU_DEP_3) | instskip(NEXT) | instid1(VALU_DEP_3)
	v_dual_mul_f32 v11, v11, v60 :: v_dual_fmac_f32 v54, v8, v58
	v_fma_f32 v8, v8, v59, -v9
	s_delay_alu instid0(VALU_DEP_3) | instskip(NEXT) | instid1(VALU_DEP_3)
	v_dual_fmac_f32 v55, v10, v60 :: v_dual_fmac_f32 v108, v4, v62
	v_fma_f32 v9, v10, v61, -v11
	s_wait_dscnt 0x1
	v_mul_f32_e32 v10, v7, v92
	v_mul_f32_e32 v7, v7, v91
	global_wb scope:SCOPE_SE
	s_wait_dscnt 0x0
	s_barrier_signal -1
	s_barrier_wait -1
	v_fmac_f32_e32 v10, v6, v91
	v_fma_f32 v6, v6, v92, -v7
	v_fmac_f32_e32 v13, v14, v56
	v_mul_f32_e32 v5, v5, v62
	v_fma_f32 v14, v14, v57, -v15
	global_inv scope:SCOPE_SE
	v_add_f32_e32 v56, v52, v13
	v_fma_f32 v4, v4, v63, -v5
	v_mul_f32_e32 v5, v3, v95
	v_mul_f32_e32 v3, v3, v96
	v_add_f32_e32 v63, v53, v14
	s_delay_alu instid0(VALU_DEP_3) | instskip(NEXT) | instid1(VALU_DEP_3)
	v_fma_f32 v5, v2, v96, -v5
	v_dual_fmac_f32 v3, v2, v95 :: v_dual_sub_f32 v2, v9, v6
	v_mul_f32_e32 v15, v84, v98
	s_delay_alu instid0(VALU_DEP_2) | instskip(SKIP_2) | instid1(VALU_DEP_2)
	v_dual_mul_f32 v61, v84, v97 :: v_dual_add_f32 v60, v13, v3
	v_dual_add_f32 v7, v55, v10 :: v_dual_sub_f32 v58, v13, v55
	v_dual_sub_f32 v59, v3, v10 :: v_dual_sub_f32 v62, v10, v3
	v_fma_f32 v57, -0.5, v7, v52
	v_sub_f32_e32 v7, v14, v5
	v_mul_f32_e32 v11, v1, v94
	s_delay_alu instid0(VALU_DEP_4) | instskip(SKIP_1) | instid1(VALU_DEP_3)
	v_dual_mul_f32 v1, v1, v93 :: v_dual_add_f32 v58, v58, v59
	v_fma_f32 v52, -0.5, v60, v52
	v_fmac_f32_e32 v11, v0, v93
	s_delay_alu instid0(VALU_DEP_3) | instskip(SKIP_1) | instid1(VALU_DEP_1)
	v_fma_f32 v0, v0, v94, -v1
	v_add_f32_e32 v1, v56, v55
	v_add_f32_e32 v1, v1, v10
	v_sub_f32_e32 v10, v55, v10
	v_fmamk_f32 v56, v7, 0xbf737871, v57
	v_fmac_f32_e32 v57, 0x3f737871, v7
	s_delay_alu instid0(VALU_DEP_2) | instskip(NEXT) | instid1(VALU_DEP_2)
	v_fmac_f32_e32 v56, 0xbf167918, v2
	v_fmac_f32_e32 v57, 0x3f167918, v2
	s_delay_alu instid0(VALU_DEP_2) | instskip(NEXT) | instid1(VALU_DEP_2)
	v_fmac_f32_e32 v56, 0x3e9e377a, v58
	v_fmac_f32_e32 v57, 0x3e9e377a, v58
	v_sub_f32_e32 v58, v5, v6
	v_fma_f32 v59, v83, v98, -v61
	v_fmamk_f32 v61, v2, 0x3f737871, v52
	v_fmac_f32_e32 v52, 0xbf737871, v2
	v_add_f32_e32 v2, v63, v9
	v_dual_add_f32 v60, v1, v3 :: v_dual_sub_f32 v1, v55, v13
	s_delay_alu instid0(VALU_DEP_3) | instskip(SKIP_2) | instid1(VALU_DEP_4)
	v_dual_fmac_f32 v15, v83, v97 :: v_dual_fmac_f32 v52, 0x3f167918, v7
	v_fmac_f32_e32 v61, 0xbf167918, v7
	v_sub_f32_e32 v55, v14, v9
	v_add_f32_e32 v1, v1, v62
	v_add_f32_e32 v7, v14, v5
	v_dual_add_f32 v2, v2, v6 :: v_dual_sub_f32 v3, v13, v3
	s_delay_alu instid0(VALU_DEP_3) | instskip(SKIP_2) | instid1(VALU_DEP_4)
	v_fmac_f32_e32 v61, 0x3e9e377a, v1
	v_dual_fmac_f32 v52, 0x3e9e377a, v1 :: v_dual_add_f32 v1, v55, v58
	v_add_f32_e32 v83, v9, v6
	v_dual_add_f32 v63, v2, v5 :: v_dual_sub_f32 v2, v9, v14
	v_dual_sub_f32 v5, v6, v5 :: v_dual_sub_f32 v14, v108, v54
	s_delay_alu instid0(VALU_DEP_3) | instskip(SKIP_1) | instid1(VALU_DEP_3)
	v_fma_f32 v62, -0.5, v83, v53
	v_fma_f32 v53, -0.5, v7, v53
	v_dual_sub_f32 v7, v15, v11 :: v_dual_add_f32 v2, v2, v5
	v_add_f32_e32 v6, v107, v54
	s_delay_alu instid0(VALU_DEP_3) | instskip(SKIP_1) | instid1(VALU_DEP_2)
	v_dual_sub_f32 v58, v11, v15 :: v_dual_fmamk_f32 v55, v10, 0xbf737871, v53
	v_fmac_f32_e32 v53, 0x3f737871, v10
	v_fmac_f32_e32 v55, 0x3f167918, v3
	s_delay_alu instid0(VALU_DEP_2) | instskip(NEXT) | instid1(VALU_DEP_2)
	v_fmac_f32_e32 v53, 0xbf167918, v3
	v_fmac_f32_e32 v55, 0x3e9e377a, v2
	s_delay_alu instid0(VALU_DEP_2) | instskip(SKIP_2) | instid1(VALU_DEP_2)
	v_dual_fmac_f32 v53, 0x3e9e377a, v2 :: v_dual_sub_f32 v2, v54, v108
	v_fmamk_f32 v13, v3, 0x3f737871, v62
	v_fmac_f32_e32 v62, 0xbf737871, v3
	v_dual_add_f32 v2, v2, v7 :: v_dual_fmac_f32 v13, 0x3f167918, v10
	s_delay_alu instid0(VALU_DEP_2) | instskip(SKIP_2) | instid1(VALU_DEP_4)
	v_fmac_f32_e32 v62, 0xbf167918, v10
	v_dual_add_f32 v7, v14, v58 :: v_dual_sub_f32 v58, v0, v59
	v_add_f32_e32 v5, v6, v108
	v_dual_fmac_f32 v13, 0x3e9e377a, v1 :: v_dual_add_f32 v6, v108, v11
	s_delay_alu instid0(VALU_DEP_4) | instskip(NEXT) | instid1(VALU_DEP_3)
	v_fmac_f32_e32 v62, 0x3e9e377a, v1
	v_dual_add_f32 v14, v12, v8 :: v_dual_add_f32 v1, v5, v11
	v_add_f32_e32 v5, v54, v15
	s_delay_alu instid0(VALU_DEP_4) | instskip(SKIP_1) | instid1(VALU_DEP_4)
	v_fma_f32 v3, -0.5, v6, v107
	v_sub_f32_e32 v6, v8, v59
	v_dual_add_f32 v10, v1, v15 :: v_dual_sub_f32 v1, v4, v0
	s_delay_alu instid0(VALU_DEP_4) | instskip(NEXT) | instid1(VALU_DEP_3)
	v_fmac_f32_e32 v107, -0.5, v5
	v_fmamk_f32 v5, v6, 0xbf737871, v3
	v_fmac_f32_e32 v3, 0x3f737871, v6
	s_delay_alu instid0(VALU_DEP_3) | instskip(NEXT) | instid1(VALU_DEP_3)
	v_fmamk_f32 v9, v1, 0x3f737871, v107
	v_fmac_f32_e32 v5, 0xbf167918, v1
	s_delay_alu instid0(VALU_DEP_3)
	v_fmac_f32_e32 v3, 0x3f167918, v1
	v_fmac_f32_e32 v107, 0xbf737871, v1
	v_add_f32_e32 v1, v4, v0
	v_fmac_f32_e32 v9, 0xbf167918, v6
	v_fmac_f32_e32 v5, 0x3e9e377a, v2
	v_dual_fmac_f32 v3, 0x3e9e377a, v2 :: v_dual_add_f32 v2, v8, v59
	s_delay_alu instid0(VALU_DEP_4) | instskip(NEXT) | instid1(VALU_DEP_4)
	v_fma_f32 v1, -0.5, v1, v12
	v_fmac_f32_e32 v9, 0x3e9e377a, v7
	v_sub_f32_e32 v11, v108, v11
	v_fmac_f32_e32 v107, 0x3f167918, v6
	v_fmac_f32_e32 v12, -0.5, v2
	v_sub_f32_e32 v6, v54, v15
	v_sub_f32_e32 v2, v8, v4
	;; [unrolled: 1-line block ×3, first 2 shown]
	v_add_f32_e32 v4, v14, v4
	v_fmamk_f32 v54, v11, 0xbf737871, v12
	v_sub_f32_e32 v15, v59, v0
	s_delay_alu instid0(VALU_DEP_4) | instskip(NEXT) | instid1(VALU_DEP_4)
	v_dual_fmac_f32 v107, 0x3e9e377a, v7 :: v_dual_add_f32 v8, v8, v58
	v_add_f32_e32 v0, v4, v0
	s_delay_alu instid0(VALU_DEP_4) | instskip(SKIP_2) | instid1(VALU_DEP_4)
	v_fmac_f32_e32 v54, 0x3f167918, v6
	v_fmamk_f32 v7, v6, 0x3f737871, v1
	v_dual_fmac_f32 v1, 0xbf737871, v6 :: v_dual_add_f32 v2, v2, v15
	v_add_f32_e32 v58, v0, v59
	s_delay_alu instid0(VALU_DEP_4) | instskip(SKIP_2) | instid1(VALU_DEP_3)
	v_fmac_f32_e32 v54, 0x3e9e377a, v8
	v_add_f32_e32 v0, v60, v10
	v_sub_f32_e32 v10, v60, v10
	v_mul_f32_e32 v14, 0xbf737871, v54
	v_mul_f32_e32 v84, 0x3e9e377a, v54
	s_delay_alu instid0(VALU_DEP_2) | instskip(NEXT) | instid1(VALU_DEP_1)
	v_fmac_f32_e32 v14, 0x3e9e377a, v9
	v_add_f32_e32 v4, v61, v14
	v_sub_f32_e32 v14, v61, v14
	s_delay_alu instid0(VALU_DEP_4) | instskip(SKIP_1) | instid1(VALU_DEP_1)
	v_fmac_f32_e32 v84, 0x3f737871, v9
	v_fmac_f32_e32 v12, 0x3f737871, v11
	v_dual_fmac_f32 v1, 0xbf167918, v11 :: v_dual_fmac_f32 v12, 0xbf167918, v6
	s_delay_alu instid0(VALU_DEP_1) | instskip(NEXT) | instid1(VALU_DEP_1)
	v_dual_fmac_f32 v1, 0x3e9e377a, v2 :: v_dual_fmac_f32 v12, 0x3e9e377a, v8
	v_mul_f32_e32 v59, 0xbf167918, v1
	v_dual_mul_f32 v92, 0xbf4f1bbd, v1 :: v_dual_add_f32 v1, v63, v58
	s_delay_alu instid0(VALU_DEP_3) | instskip(SKIP_1) | instid1(VALU_DEP_2)
	v_mul_f32_e32 v15, 0xbf737871, v12
	v_mul_f32_e32 v91, 0xbe9e377a, v12
	v_fmac_f32_e32 v15, 0xbe9e377a, v107
	s_delay_alu instid0(VALU_DEP_2) | instskip(NEXT) | instid1(VALU_DEP_2)
	v_fmac_f32_e32 v91, 0x3f737871, v107
	v_add_f32_e32 v6, v52, v15
	v_sub_f32_e32 v52, v52, v15
	v_fmac_f32_e32 v59, 0xbf4f1bbd, v3
	v_dual_fmac_f32 v92, 0x3f167918, v3 :: v_dual_sub_f32 v15, v55, v84
	s_delay_alu instid0(VALU_DEP_2) | instskip(SKIP_1) | instid1(VALU_DEP_3)
	v_sub_f32_e32 v54, v57, v59
	v_fmac_f32_e32 v7, 0x3f167918, v11
	v_dual_add_f32 v8, v57, v59 :: v_dual_add_f32 v9, v62, v92
	s_delay_alu instid0(VALU_DEP_2) | instskip(NEXT) | instid1(VALU_DEP_1)
	v_fmac_f32_e32 v7, 0x3e9e377a, v2
	v_mul_f32_e32 v11, 0xbf167918, v7
	v_mul_f32_e32 v83, 0x3f4f1bbd, v7
	v_add_f32_e32 v7, v53, v91
	v_sub_f32_e32 v53, v53, v91
	s_delay_alu instid0(VALU_DEP_4) | instskip(NEXT) | instid1(VALU_DEP_1)
	v_fmac_f32_e32 v11, 0x3f4f1bbd, v5
	v_dual_sub_f32 v12, v56, v11 :: v_dual_fmac_f32 v83, 0x3f167918, v5
	v_dual_add_f32 v2, v56, v11 :: v_dual_add_f32 v5, v55, v84
	v_sub_f32_e32 v11, v63, v58
	v_sub_f32_e32 v55, v62, v92
	s_delay_alu instid0(VALU_DEP_4)
	v_add_f32_e32 v3, v13, v83
	v_sub_f32_e32 v13, v13, v83
	ds_store_2addr_b64 v101, v[0:1], v[2:3] offset1:4
	ds_store_2addr_b64 v101, v[4:5], v[6:7] offset0:8 offset1:12
	ds_store_2addr_b64 v101, v[8:9], v[10:11] offset0:16 offset1:20
	;; [unrolled: 1-line block ×4, first 2 shown]
	global_wb scope:SCOPE_SE
	s_wait_dscnt 0x0
	s_barrier_signal -1
	s_barrier_wait -1
	global_inv scope:SCOPE_SE
	ds_load_2addr_b64 v[0:3], v99 offset1:240
	ds_load_2addr_b64 v[4:7], v102 offset1:240
	ds_load_2addr_b64 v[8:11], v103 offset1:240
	ds_load_2addr_b64 v[12:15], v104 offset1:240
	ds_load_2addr_b64 v[52:55], v106 offset1:240
	global_wb scope:SCOPE_SE
	s_wait_dscnt 0x0
	s_barrier_signal -1
	s_barrier_wait -1
	global_inv scope:SCOPE_SE
	v_mul_f32_e32 v56, v37, v3
	v_mul_f32_e32 v37, v37, v2
	s_delay_alu instid0(VALU_DEP_2) | instskip(SKIP_1) | instid1(VALU_DEP_3)
	v_dual_mul_f32 v57, v39, v5 :: v_dual_fmac_f32 v56, v36, v2
	v_mul_f32_e32 v2, v39, v4
	v_fma_f32 v3, v36, v3, -v37
	s_delay_alu instid0(VALU_DEP_2) | instskip(SKIP_2) | instid1(VALU_DEP_2)
	v_fma_f32 v2, v38, v5, -v2
	v_mul_f32_e32 v5, v35, v9
	v_mul_f32_e32 v35, v35, v8
	v_fmac_f32_e32 v5, v34, v8
	s_delay_alu instid0(VALU_DEP_2) | instskip(SKIP_3) | instid1(VALU_DEP_3)
	v_fma_f32 v8, v34, v9, -v35
	v_dual_fmac_f32 v57, v38, v4 :: v_dual_mul_f32 v4, v33, v7
	v_mul_f32_e32 v9, v29, v10
	v_add_f32_e32 v35, v1, v2
	v_fmac_f32_e32 v4, v32, v6
	v_mul_f32_e32 v33, v33, v6
	s_delay_alu instid0(VALU_DEP_4) | instskip(NEXT) | instid1(VALU_DEP_2)
	v_fma_f32 v9, v28, v11, -v9
	v_fma_f32 v6, v32, v7, -v33
	v_mul_f32_e32 v7, v29, v11
	v_mul_f32_e32 v29, v31, v13
	s_delay_alu instid0(VALU_DEP_2) | instskip(SKIP_1) | instid1(VALU_DEP_3)
	v_dual_fmac_f32 v7, v28, v10 :: v_dual_mul_f32 v10, v31, v12
	v_mul_f32_e32 v31, v17, v15
	v_dual_fmac_f32 v29, v30, v12 :: v_dual_mul_f32 v12, v17, v14
	v_mul_f32_e32 v17, v86, v55
	s_delay_alu instid0(VALU_DEP_4) | instskip(NEXT) | instid1(VALU_DEP_4)
	v_fma_f32 v10, v30, v13, -v10
	v_dual_fmac_f32 v31, v16, v14 :: v_dual_mul_f32 v14, v19, v53
	s_delay_alu instid0(VALU_DEP_4) | instskip(NEXT) | instid1(VALU_DEP_4)
	v_add_f32_e32 v13, v5, v29
	v_fmac_f32_e32 v17, v85, v54
	v_mul_f32_e32 v11, v19, v52
	s_delay_alu instid0(VALU_DEP_4) | instskip(NEXT) | instid1(VALU_DEP_4)
	v_dual_add_f32 v19, v0, v57 :: v_dual_fmac_f32 v14, v18, v52
	v_fma_f32 v28, -0.5, v13, v0
	v_fma_f32 v12, v16, v15, -v12
	s_delay_alu instid0(VALU_DEP_4) | instskip(SKIP_3) | instid1(VALU_DEP_4)
	v_fma_f32 v11, v18, v53, -v11
	v_sub_f32_e32 v18, v57, v5
	v_sub_f32_e32 v30, v14, v29
	v_dual_add_f32 v32, v57, v14 :: v_dual_add_f32 v15, v19, v5
	v_dual_sub_f32 v13, v2, v11 :: v_dual_sub_f32 v16, v8, v10
	v_mul_f32_e32 v33, v86, v54
	s_delay_alu instid0(VALU_DEP_4) | instskip(NEXT) | instid1(VALU_DEP_4)
	v_add_f32_e32 v18, v18, v30
	v_fma_f32 v30, -0.5, v32, v0
	s_delay_alu instid0(VALU_DEP_4)
	v_fmamk_f32 v19, v13, 0xbf737871, v28
	v_fmac_f32_e32 v28, 0x3f737871, v13
	v_fma_f32 v0, v85, v55, -v33
	v_add_f32_e32 v15, v15, v29
	v_fmamk_f32 v33, v16, 0x3f737871, v30
	v_fmac_f32_e32 v19, 0xbf167918, v16
	v_fmac_f32_e32 v28, 0x3f167918, v16
	;; [unrolled: 1-line block ×3, first 2 shown]
	v_add_f32_e32 v16, v35, v8
	v_add_f32_e32 v36, v8, v10
	v_fmac_f32_e32 v19, 0x3e9e377a, v18
	v_fmac_f32_e32 v33, 0xbf167918, v13
	;; [unrolled: 1-line block ×3, first 2 shown]
	v_dual_fmac_f32 v30, 0x3f167918, v13 :: v_dual_add_f32 v13, v16, v10
	v_add_f32_e32 v16, v2, v11
	v_sub_f32_e32 v18, v2, v8
	v_sub_f32_e32 v2, v8, v2
	;; [unrolled: 1-line block ×3, first 2 shown]
	v_add_f32_e32 v32, v15, v14
	v_sub_f32_e32 v34, v29, v14
	v_sub_f32_e32 v14, v57, v14
	s_delay_alu instid0(VALU_DEP_4) | instskip(SKIP_3) | instid1(VALU_DEP_3)
	v_add_f32_e32 v2, v2, v8
	v_dual_add_f32 v8, v7, v31 :: v_dual_sub_f32 v15, v5, v57
	v_sub_f32_e32 v5, v5, v29
	v_dual_sub_f32 v29, v11, v10 :: v_dual_add_f32 v10, v56, v4
	v_add_f32_e32 v15, v15, v34
	v_fma_f32 v34, -0.5, v36, v1
	v_fma_f32 v36, -0.5, v16, v1
	v_add_f32_e32 v1, v13, v11
	v_add_f32_e32 v13, v18, v29
	v_fma_f32 v11, -0.5, v8, v56
	v_fmamk_f32 v35, v14, 0x3f737871, v34
	v_fmac_f32_e32 v34, 0xbf737871, v14
	v_fmamk_f32 v29, v5, 0xbf737871, v36
	v_fmac_f32_e32 v36, 0x3f737871, v5
	v_add_f32_e32 v8, v4, v17
	v_fmac_f32_e32 v35, 0x3f167918, v5
	v_dual_fmac_f32 v34, 0xbf167918, v5 :: v_dual_add_f32 v5, v10, v7
	v_fmac_f32_e32 v33, 0x3e9e377a, v15
	v_fmac_f32_e32 v29, 0x3f167918, v14
	;; [unrolled: 1-line block ×3, first 2 shown]
	s_delay_alu instid0(VALU_DEP_4) | instskip(NEXT) | instid1(VALU_DEP_3)
	v_dual_fmac_f32 v56, -0.5, v8 :: v_dual_add_f32 v5, v5, v31
	v_dual_fmac_f32 v30, 0x3e9e377a, v15 :: v_dual_fmac_f32 v29, 0x3e9e377a, v2
	s_delay_alu instid0(VALU_DEP_3) | instskip(SKIP_1) | instid1(VALU_DEP_4)
	v_fmac_f32_e32 v36, 0x3e9e377a, v2
	v_sub_f32_e32 v10, v6, v0
	v_add_f32_e32 v2, v5, v17
	v_dual_sub_f32 v5, v9, v12 :: v_dual_sub_f32 v8, v4, v7
	v_dual_sub_f32 v16, v7, v4 :: v_dual_fmac_f32 v35, 0x3e9e377a, v13
	v_fmac_f32_e32 v34, 0x3e9e377a, v13
	s_delay_alu instid0(VALU_DEP_3) | instskip(SKIP_3) | instid1(VALU_DEP_4)
	v_fmamk_f32 v15, v5, 0x3f737871, v56
	v_fmac_f32_e32 v56, 0xbf737871, v5
	v_sub_f32_e32 v14, v17, v31
	v_dual_sub_f32 v18, v31, v17 :: v_dual_fmamk_f32 v13, v10, 0xbf737871, v11
	v_fmac_f32_e32 v15, 0xbf167918, v10
	s_delay_alu instid0(VALU_DEP_4) | instskip(NEXT) | instid1(VALU_DEP_4)
	v_fmac_f32_e32 v56, 0x3f167918, v10
	v_add_f32_e32 v8, v8, v14
	s_delay_alu instid0(VALU_DEP_4) | instskip(SKIP_1) | instid1(VALU_DEP_2)
	v_dual_add_f32 v14, v16, v18 :: v_dual_fmac_f32 v13, 0xbf167918, v5
	v_dual_sub_f32 v4, v4, v17 :: v_dual_sub_f32 v7, v7, v31
	v_dual_sub_f32 v18, v12, v0 :: v_dual_fmac_f32 v15, 0x3e9e377a, v14
	v_fmac_f32_e32 v11, 0x3f737871, v10
	s_delay_alu instid0(VALU_DEP_4) | instskip(SKIP_1) | instid1(VALU_DEP_3)
	v_dual_fmac_f32 v13, 0x3e9e377a, v8 :: v_dual_add_f32 v10, v3, v6
	v_fmac_f32_e32 v56, 0x3e9e377a, v14
	v_dual_sub_f32 v14, v0, v12 :: v_dual_fmac_f32 v11, 0x3f167918, v5
	s_delay_alu instid0(VALU_DEP_1) | instskip(SKIP_2) | instid1(VALU_DEP_2)
	v_fmac_f32_e32 v11, 0x3e9e377a, v8
	v_add_f32_e32 v5, v9, v12
	v_add_f32_e32 v8, v6, v0
	v_fma_f32 v5, -0.5, v5, v3
	s_delay_alu instid0(VALU_DEP_2) | instskip(SKIP_1) | instid1(VALU_DEP_3)
	v_dual_fmac_f32 v3, -0.5, v8 :: v_dual_sub_f32 v8, v6, v9
	v_sub_f32_e32 v6, v9, v6
	v_fmamk_f32 v16, v4, 0x3f737871, v5
	s_delay_alu instid0(VALU_DEP_3) | instskip(NEXT) | instid1(VALU_DEP_3)
	v_dual_fmac_f32 v5, 0xbf737871, v4 :: v_dual_add_f32 v8, v8, v14
	v_add_f32_e32 v6, v6, v18
	s_delay_alu instid0(VALU_DEP_2) | instskip(NEXT) | instid1(VALU_DEP_1)
	v_dual_sub_f32 v18, v32, v2 :: v_dual_fmac_f32 v5, 0xbf167918, v7
	v_fmac_f32_e32 v5, 0x3e9e377a, v8
	s_delay_alu instid0(VALU_DEP_1) | instskip(SKIP_4) | instid1(VALU_DEP_4)
	v_mul_f32_e32 v54, 0xbf4f1bbd, v5
	v_fmamk_f32 v17, v7, 0xbf737871, v3
	v_fmac_f32_e32 v3, 0x3f737871, v7
	v_fmac_f32_e32 v16, 0x3f167918, v7
	v_mul_f32_e32 v38, 0xbf167918, v5
	v_fmac_f32_e32 v17, 0x3f167918, v4
	s_delay_alu instid0(VALU_DEP_4) | instskip(NEXT) | instid1(VALU_DEP_4)
	v_dual_fmac_f32 v3, 0xbf167918, v4 :: v_dual_add_f32 v4, v10, v9
	v_fmac_f32_e32 v16, 0x3e9e377a, v8
	s_delay_alu instid0(VALU_DEP_4) | instskip(NEXT) | instid1(VALU_DEP_4)
	v_fmac_f32_e32 v38, 0xbf4f1bbd, v11
	v_fmac_f32_e32 v17, 0x3e9e377a, v6
	s_delay_alu instid0(VALU_DEP_4) | instskip(NEXT) | instid1(VALU_DEP_4)
	v_dual_fmac_f32 v3, 0x3e9e377a, v6 :: v_dual_add_f32 v4, v4, v12
	v_mul_f32_e32 v6, 0xbf167918, v16
	v_mul_f32_e32 v39, 0x3f4f1bbd, v16
	s_delay_alu instid0(VALU_DEP_4) | instskip(NEXT) | instid1(VALU_DEP_4)
	v_mul_f32_e32 v7, 0xbf737871, v17
	v_mul_f32_e32 v31, 0xbf737871, v3
	;; [unrolled: 1-line block ×4, first 2 shown]
	v_add_f32_e32 v37, v4, v0
	v_fmac_f32_e32 v7, 0x3e9e377a, v15
	v_fmac_f32_e32 v31, 0xbe9e377a, v56
	s_delay_alu instid0(VALU_DEP_4) | instskip(NEXT) | instid1(VALU_DEP_4)
	v_dual_fmac_f32 v52, 0x3f737871, v15 :: v_dual_fmac_f32 v53, 0x3f737871, v56
	v_dual_add_f32 v8, v32, v2 :: v_dual_add_f32 v9, v1, v37
	s_delay_alu instid0(VALU_DEP_3) | instskip(SKIP_3) | instid1(VALU_DEP_3)
	v_sub_f32_e32 v4, v30, v31
	v_fmac_f32_e32 v6, 0x3f4f1bbd, v13
	v_dual_fmac_f32 v39, 0x3f167918, v13 :: v_dual_add_f32 v12, v33, v7
	v_dual_add_f32 v14, v30, v31 :: v_dual_add_f32 v13, v29, v52
	v_add_f32_e32 v10, v19, v6
	v_sub_f32_e32 v0, v19, v6
	v_sub_f32_e32 v6, v28, v38
	v_fmac_f32_e32 v54, 0x3f167918, v11
	v_add_f32_e32 v11, v35, v39
	v_add_f32_e32 v15, v36, v53
	;; [unrolled: 1-line block ×3, first 2 shown]
	s_delay_alu instid0(VALU_DEP_4)
	v_dual_add_f32 v17, v34, v54 :: v_dual_add_nc_u32 v28, 0x400, v105
	v_sub_f32_e32 v19, v1, v37
	v_sub_f32_e32 v2, v33, v7
	;; [unrolled: 1-line block ×6, first 2 shown]
	v_add_nc_u32_e32 v29, 0x800, v105
	ds_store_2addr_b64 v105, v[8:9], v[10:11] offset1:40
	ds_store_2addr_b64 v105, v[12:13], v[14:15] offset0:80 offset1:120
	ds_store_2addr_b64 v105, v[16:17], v[18:19] offset0:160 offset1:200
	;; [unrolled: 1-line block ×4, first 2 shown]
	global_wb scope:SCOPE_SE
	s_wait_dscnt 0x0
	s_barrier_signal -1
	s_barrier_wait -1
	global_inv scope:SCOPE_SE
	ds_load_b64 v[8:9], v99
	ds_load_b64 v[18:19], v99 offset:3200
	ds_load_b64 v[16:17], v99 offset:6400
	;; [unrolled: 1-line block ×5, first 2 shown]
	s_and_saveexec_b32 s1, s0
	s_cbranch_execz .LBB0_19
; %bb.18:
	ds_load_b64 v[0:1], v99 offset:1920
	ds_load_b64 v[2:3], v99 offset:5120
	;; [unrolled: 1-line block ×6, first 2 shown]
.LBB0_19:
	s_wait_alu 0xfffe
	s_or_b32 exec_lo, exec_lo, s1
	s_wait_dscnt 0x3
	v_dual_mul_f32 v28, v45, v19 :: v_dual_mul_f32 v31, v47, v16
	v_dual_mul_f32 v29, v45, v18 :: v_dual_mul_f32 v30, v47, v17
	s_delay_alu instid0(VALU_DEP_2) | instskip(NEXT) | instid1(VALU_DEP_3)
	v_fmac_f32_e32 v28, v44, v18
	v_fma_f32 v17, v46, v17, -v31
	s_delay_alu instid0(VALU_DEP_3) | instskip(SKIP_4) | instid1(VALU_DEP_2)
	v_fma_f32 v18, v44, v19, -v29
	s_wait_dscnt 0x2
	v_dual_mul_f32 v19, v41, v15 :: v_dual_fmac_f32 v30, v46, v16
	s_wait_dscnt 0x1
	v_dual_mul_f32 v29, v41, v14 :: v_dual_mul_f32 v16, v43, v13
	v_dual_fmac_f32 v19, v40, v14 :: v_dual_mul_f32 v14, v43, v12
	s_delay_alu instid0(VALU_DEP_2) | instskip(SKIP_2) | instid1(VALU_DEP_3)
	v_fma_f32 v15, v40, v15, -v29
	s_wait_dscnt 0x0
	v_mul_f32_e32 v29, v90, v10
	v_fma_f32 v13, v42, v13, -v14
	v_fmac_f32_e32 v16, v42, v12
	v_mul_f32_e32 v12, v90, v11
	s_delay_alu instid0(VALU_DEP_4) | instskip(NEXT) | instid1(VALU_DEP_3)
	v_fma_f32 v11, v89, v11, -v29
	v_dual_add_f32 v29, v17, v13 :: v_dual_add_f32 v14, v30, v16
	s_delay_alu instid0(VALU_DEP_3) | instskip(SKIP_1) | instid1(VALU_DEP_3)
	v_fmac_f32_e32 v12, v89, v10
	v_add_f32_e32 v10, v8, v30
	v_fma_f32 v8, -0.5, v14, v8
	s_delay_alu instid0(VALU_DEP_2) | instskip(SKIP_3) | instid1(VALU_DEP_1)
	v_dual_sub_f32 v14, v17, v13 :: v_dual_add_f32 v31, v10, v16
	v_sub_f32_e32 v16, v30, v16
	v_add_f32_e32 v10, v9, v17
	v_fmac_f32_e32 v9, -0.5, v29
	v_fmamk_f32 v30, v16, 0x3f5db3d7, v9
	v_fmac_f32_e32 v9, 0xbf5db3d7, v16
	s_delay_alu instid0(VALU_DEP_4) | instskip(SKIP_4) | instid1(VALU_DEP_1)
	v_dual_add_f32 v29, v10, v13 :: v_dual_add_f32 v10, v19, v12
	v_add_f32_e32 v13, v18, v15
	v_fmamk_f32 v17, v14, 0xbf5db3d7, v8
	v_fmac_f32_e32 v8, 0x3f5db3d7, v14
	v_add_f32_e32 v14, v15, v11
	v_dual_add_f32 v33, v13, v11 :: v_dual_fmac_f32 v18, -0.5, v14
	v_dual_sub_f32 v14, v19, v12 :: v_dual_add_f32 v19, v28, v19
	v_fmac_f32_e32 v28, -0.5, v10
	s_delay_alu instid0(VALU_DEP_3) | instskip(NEXT) | instid1(VALU_DEP_3)
	v_dual_sub_f32 v10, v15, v11 :: v_dual_add_f32 v11, v29, v33
	v_dual_fmamk_f32 v15, v14, 0x3f5db3d7, v18 :: v_dual_add_f32 v16, v19, v12
	s_delay_alu instid0(VALU_DEP_2) | instskip(SKIP_1) | instid1(VALU_DEP_3)
	v_fmamk_f32 v12, v10, 0xbf5db3d7, v28
	v_fmac_f32_e32 v28, 0x3f5db3d7, v10
	v_mul_f32_e32 v19, 0xbf5db3d7, v15
	s_delay_alu instid0(VALU_DEP_1) | instskip(SKIP_1) | instid1(VALU_DEP_1)
	v_dual_mul_f32 v34, 0.5, v15 :: v_dual_fmac_f32 v19, 0.5, v12
	v_fmac_f32_e32 v18, 0xbf5db3d7, v14
	v_mul_f32_e32 v35, -0.5, v18
	v_mul_f32_e32 v32, 0xbf5db3d7, v18
	s_delay_alu instid0(VALU_DEP_2) | instskip(NEXT) | instid1(VALU_DEP_1)
	v_dual_sub_f32 v18, v17, v19 :: v_dual_fmac_f32 v35, 0x3f5db3d7, v28
	v_add_f32_e32 v15, v9, v35
	v_dual_sub_f32 v9, v9, v35 :: v_dual_fmac_f32 v34, 0x3f5db3d7, v12
	s_delay_alu instid0(VALU_DEP_4) | instskip(SKIP_2) | instid1(VALU_DEP_4)
	v_fmac_f32_e32 v32, -0.5, v28
	v_add_f32_e32 v12, v17, v19
	v_sub_f32_e32 v17, v29, v33
	v_sub_f32_e32 v19, v30, v34
	v_dual_add_f32 v13, v30, v34 :: v_dual_add_f32 v10, v31, v16
	v_add_f32_e32 v14, v8, v32
	v_sub_f32_e32 v16, v31, v16
	v_sub_f32_e32 v8, v8, v32
	ds_store_b64 v99, v[10:11]
	ds_store_b64 v99, v[12:13] offset:3200
	ds_store_b64 v99, v[14:15] offset:6400
	;; [unrolled: 1-line block ×5, first 2 shown]
	s_and_saveexec_b32 s1, s0
	s_cbranch_execz .LBB0_21
; %bb.20:
	v_dual_mul_f32 v8, v27, v4 :: v_dual_mul_f32 v11, v21, v6
	v_dual_mul_f32 v9, v23, v48 :: v_dual_mul_f32 v12, v88, v50
	v_mul_f32_e32 v10, v27, v5
	s_delay_alu instid0(VALU_DEP_3) | instskip(SKIP_1) | instid1(VALU_DEP_4)
	v_fma_f32 v5, v26, v5, -v8
	v_dual_mul_f32 v13, v88, v51 :: v_dual_mul_f32 v14, v25, v2
	v_fma_f32 v8, v22, v49, -v9
	v_mul_f32_e32 v9, v21, v7
	v_fma_f32 v7, v20, v7, -v11
	v_fma_f32 v12, v87, v51, -v12
	v_mul_f32_e32 v15, v25, v3
	v_fmac_f32_e32 v13, v87, v50
	v_fma_f32 v3, v24, v3, -v14
	v_dual_mul_f32 v14, v23, v49 :: v_dual_fmac_f32 v9, v20, v6
	v_add_f32_e32 v6, v12, v7
	v_dual_add_f32 v11, v8, v5 :: v_dual_fmac_f32 v10, v26, v4
	s_delay_alu instid0(VALU_DEP_3) | instskip(NEXT) | instid1(VALU_DEP_4)
	v_dual_fmac_f32 v14, v22, v48 :: v_dual_fmac_f32 v15, v24, v2
	v_add_f32_e32 v2, v13, v9
	s_delay_alu instid0(VALU_DEP_4)
	v_fma_f32 v4, -0.5, v6, v3
	v_sub_f32_e32 v16, v7, v12
	v_fma_f32 v11, -0.5, v11, v1
	v_dual_sub_f32 v18, v10, v14 :: v_dual_add_f32 v1, v5, v1
	v_fma_f32 v2, -0.5, v2, v15
	v_dual_sub_f32 v6, v9, v13 :: v_dual_add_f32 v3, v3, v7
	v_add_f32_e32 v21, v14, v10
	s_delay_alu instid0(VALU_DEP_4) | instskip(NEXT) | instid1(VALU_DEP_4)
	v_dual_fmamk_f32 v20, v18, 0xbf5db3d7, v11 :: v_dual_sub_f32 v7, v5, v8
	v_fmamk_f32 v19, v16, 0x3f5db3d7, v2
	s_delay_alu instid0(VALU_DEP_4) | instskip(SKIP_3) | instid1(VALU_DEP_4)
	v_fmamk_f32 v17, v6, 0xbf5db3d7, v4
	v_fmac_f32_e32 v4, 0x3f5db3d7, v6
	v_fmac_f32_e32 v2, 0xbf5db3d7, v16
	v_dual_fmac_f32 v11, 0x3f5db3d7, v18 :: v_dual_add_f32 v18, v8, v1
	v_mul_f32_e32 v6, -0.5, v17
	s_delay_alu instid0(VALU_DEP_4) | instskip(SKIP_2) | instid1(VALU_DEP_3)
	v_dual_mul_f32 v16, 0.5, v4 :: v_dual_mul_f32 v17, 0xbf5db3d7, v17
	v_dual_add_f32 v8, v12, v3 :: v_dual_add_f32 v9, v15, v9
	v_fma_f32 v21, -0.5, v21, v0
	v_dual_fmac_f32 v16, 0x3f5db3d7, v2 :: v_dual_fmac_f32 v17, -0.5, v19
	v_fmac_f32_e32 v6, 0x3f5db3d7, v19
	v_dual_add_f32 v10, v0, v10 :: v_dual_mul_f32 v15, 0xbf5db3d7, v4
	s_delay_alu instid0(VALU_DEP_3) | instskip(SKIP_1) | instid1(VALU_DEP_4)
	v_sub_f32_e32 v3, v11, v16
	v_sub_f32_e32 v5, v18, v8
	v_dual_sub_f32 v1, v20, v6 :: v_dual_fmamk_f32 v12, v7, 0x3f5db3d7, v21
	s_delay_alu instid0(VALU_DEP_4) | instskip(SKIP_1) | instid1(VALU_DEP_3)
	v_dual_add_f32 v4, v14, v10 :: v_dual_add_f32 v13, v13, v9
	v_fmac_f32_e32 v21, 0xbf5db3d7, v7
	v_dual_fmac_f32 v15, 0.5, v2 :: v_dual_sub_f32 v0, v12, v17
	v_add_f32_e32 v9, v11, v16
	s_delay_alu instid0(VALU_DEP_4) | instskip(NEXT) | instid1(VALU_DEP_3)
	v_dual_add_f32 v10, v13, v4 :: v_dual_add_f32 v11, v8, v18
	v_dual_sub_f32 v2, v21, v15 :: v_dual_add_f32 v7, v20, v6
	v_add_f32_e32 v8, v21, v15
	v_add_f32_e32 v6, v12, v17
	v_sub_f32_e32 v4, v4, v13
	ds_store_b64 v99, v[10:11] offset:1920
	ds_store_b64 v99, v[8:9] offset:5120
	;; [unrolled: 1-line block ×6, first 2 shown]
.LBB0_21:
	s_wait_alu 0xfffe
	s_or_b32 exec_lo, exec_lo, s1
	global_wb scope:SCOPE_SE
	s_wait_dscnt 0x0
	s_barrier_signal -1
	s_barrier_wait -1
	global_inv scope:SCOPE_SE
	ds_load_2addr_b64 v[0:3], v99 offset1:240
	v_add_nc_u32_e32 v4, 0x1280, v99
	v_add_nc_u32_e32 v8, 0x2580, v99
	;; [unrolled: 1-line block ×3, first 2 shown]
	v_mad_co_u64_u32 v[16:17], null, s6, v64, 0
	s_mov_b32 s2, 0xb4e81b4f
	s_mov_b32 s3, 0x3f3b4e81
	v_mad_co_u64_u32 v[34:35], null, s4, v100, 0
	s_wait_dscnt 0x0
	v_mul_f32_e32 v19, v80, v0
	v_mul_f32_e32 v25, v82, v2
	ds_load_2addr_b64 v[4:7], v4 offset0:8 offset1:248
	ds_load_2addr_b64 v[8:11], v8 offset1:240
	ds_load_2addr_b64 v[12:15], v12 offset0:8 offset1:248
	v_mul_f32_e32 v18, v80, v1
	v_mul_f32_e32 v24, v82, v3
	v_fma_f32 v19, v79, v1, -v19
	s_wait_dscnt 0x2
	v_mul_f32_e32 v21, v74, v4
	s_wait_dscnt 0x1
	v_mul_f32_e32 v23, v72, v8
	;; [unrolled: 2-line block ×3, first 2 shown]
	v_dual_fmac_f32 v18, v79, v0 :: v_dual_mul_f32 v31, v78, v10
	v_dual_mul_f32 v20, v74, v5 :: v_dual_mul_f32 v33, v76, v14
	v_mul_f32_e32 v22, v72, v9
	s_delay_alu instid0(VALU_DEP_3) | instskip(SKIP_1) | instid1(VALU_DEP_4)
	v_cvt_f64_f32_e32 v[0:1], v18
	v_fma_f32 v18, v73, v5, -v21
	v_fmac_f32_e32 v20, v73, v4
	v_cvt_f64_f32_e32 v[4:5], v19
	v_mul_f32_e32 v28, v68, v7
	v_fmac_f32_e32 v22, v71, v8
	v_cvt_f64_f32_e32 v[18:19], v18
	v_fma_f32 v23, v71, v9, -v23
	v_mul_f32_e32 v30, v78, v11
	v_fmac_f32_e32 v28, v67, v6
	v_mul_f32_e32 v6, v68, v6
	v_cvt_f64_f32_e32 v[8:9], v20
	v_mul_f32_e32 v32, v76, v15
	v_cvt_f64_f32_e32 v[20:21], v22
	v_cvt_f64_f32_e32 v[22:23], v23
	v_fmac_f32_e32 v24, v81, v2
	v_fma_f32 v6, v67, v7, -v6
	v_fmac_f32_e32 v30, v77, v10
	v_fma_f32 v31, v77, v11, -v31
	;; [unrolled: 2-line block ×3, first 2 shown]
	v_cvt_f64_f32_e32 v[28:29], v28
	v_cvt_f64_f32_e32 v[6:7], v6
	v_cvt_f64_f32_e32 v[10:11], v30
	v_cvt_f64_f32_e32 v[14:15], v31
	v_cvt_f64_f32_e32 v[30:31], v32
	v_cvt_f64_f32_e32 v[32:33], v33
	s_wait_alu 0xfffe
	v_mul_f64_e32 v[0:1], s[2:3], v[0:1]
	v_mul_f64_e32 v[4:5], s[2:3], v[4:5]
	v_mad_co_u64_u32 v[36:37], null, s7, v64, v[17:18]
	v_mul_f32_e32 v26, v70, v13
	v_mul_f64_e32 v[18:19], s[2:3], v[18:19]
	s_mul_u64 s[6:7], s[4:5], 0x258
	v_mul_f64_e32 v[8:9], s[2:3], v[8:9]
	s_wait_alu 0xfffe
	s_lshl_b64 s[6:7], s[6:7], 3
	v_mul_f64_e32 v[20:21], s[2:3], v[20:21]
	v_dual_mov_b32 v17, v36 :: v_dual_fmac_f32 v26, v69, v12
	v_fma_f32 v12, v69, v13, -v27
	v_fma_f32 v27, v81, v3, -v25
	v_cvt_f64_f32_e32 v[24:25], v24
	v_mul_f64_e32 v[22:23], s[2:3], v[22:23]
	v_cvt_f64_f32_e32 v[2:3], v26
	v_cvt_f64_f32_e32 v[12:13], v12
	;; [unrolled: 1-line block ×3, first 2 shown]
	v_mul_f64_e32 v[28:29], s[2:3], v[28:29]
	v_mul_f64_e32 v[6:7], s[2:3], v[6:7]
	;; [unrolled: 1-line block ×6, first 2 shown]
	v_mad_co_u64_u32 v[35:36], null, s5, v100, v[35:36]
	v_lshlrev_b64_e32 v[16:17], 3, v[16:17]
	s_delay_alu instid0(VALU_DEP_2) | instskip(NEXT) | instid1(VALU_DEP_2)
	v_lshlrev_b64_e32 v[34:35], 3, v[34:35]
	v_add_co_u32 v16, s0, s8, v16
	s_wait_alu 0xf1ff
	s_delay_alu instid0(VALU_DEP_3)
	v_add_co_ci_u32_e64 v17, s0, s9, v17, s0
	v_cvt_f32_f64_e32 v0, v[0:1]
	v_cvt_f32_f64_e32 v1, v[4:5]
	v_add_co_u32 v16, s0, v16, v34
	s_wait_alu 0xf1ff
	v_add_co_ci_u32_e64 v17, s0, v17, v35, s0
	s_movk_i32 s8, 0xf9e8
	v_cvt_f32_f64_e32 v8, v[8:9]
	v_cvt_f32_f64_e32 v9, v[18:19]
	;; [unrolled: 1-line block ×3, first 2 shown]
	s_wait_alu 0xfffe
	v_add_co_u32 v34, s0, v16, s6
	s_wait_alu 0xf1ff
	v_add_co_ci_u32_e64 v35, s0, s7, v17, s0
	v_mul_f64_e32 v[24:25], s[2:3], v[24:25]
	v_cvt_f32_f64_e32 v19, v[22:23]
	v_mul_f64_e32 v[2:3], s[2:3], v[2:3]
	v_mul_f64_e32 v[12:13], s[2:3], v[12:13]
	v_mul_f64_e32 v[26:27], s[2:3], v[26:27]
	s_mov_b32 s9, -1
	s_wait_alu 0xfffe
	s_mul_u64 s[4:5], s[4:5], s[8:9]
	s_wait_alu 0xfffe
	s_lshl_b64 s[4:5], s[4:5], 3
	v_cvt_f32_f64_e32 v4, v[24:25]
	s_delay_alu instid0(VALU_DEP_4) | instskip(NEXT) | instid1(VALU_DEP_4)
	v_cvt_f32_f64_e32 v2, v[2:3]
	v_cvt_f32_f64_e32 v3, v[12:13]
	s_delay_alu instid0(VALU_DEP_4)
	v_cvt_f32_f64_e32 v5, v[26:27]
	v_cvt_f32_f64_e32 v12, v[28:29]
	;; [unrolled: 1-line block ×7, first 2 shown]
	v_add_co_u32 v14, s0, v34, s6
	s_wait_alu 0xf1ff
	v_add_co_ci_u32_e64 v15, s0, s7, v35, s0
	s_clause 0x2
	global_store_b64 v[16:17], v[0:1], off
	global_store_b64 v[34:35], v[8:9], off
	;; [unrolled: 1-line block ×3, first 2 shown]
	v_add_co_u32 v20, s0, v14, s6
	s_wait_alu 0xf1ff
	v_add_co_ci_u32_e64 v21, s0, s7, v15, s0
	s_wait_alu 0xfffe
	s_delay_alu instid0(VALU_DEP_2) | instskip(SKIP_1) | instid1(VALU_DEP_2)
	v_add_co_u32 v22, s0, v20, s4
	s_wait_alu 0xf1ff
	v_add_co_ci_u32_e64 v23, s0, s5, v21, s0
	s_delay_alu instid0(VALU_DEP_2) | instskip(SKIP_1) | instid1(VALU_DEP_2)
	v_add_co_u32 v24, s0, v22, s6
	s_wait_alu 0xf1ff
	v_add_co_ci_u32_e64 v25, s0, s7, v23, s0
	;; [unrolled: 4-line block ×4, first 2 shown]
	s_clause 0x1
	global_store_b64 v[20:21], v[2:3], off
	global_store_b64 v[22:23], v[4:5], off
	;; [unrolled: 1-line block ×5, first 2 shown]
	s_and_b32 exec_lo, exec_lo, vcc_lo
	s_cbranch_execz .LBB0_23
; %bb.22:
	s_clause 0x3
	global_load_b64 v[2:3], v[65:66], off offset:3840
	global_load_b64 v[4:5], v[65:66], off offset:8640
	;; [unrolled: 1-line block ×4, first 2 shown]
	ds_load_b64 v[10:11], v99 offset:3840
	ds_load_b64 v[12:13], v99 offset:8640
	;; [unrolled: 1-line block ×4, first 2 shown]
	v_add_co_u32 v0, vcc_lo, v0, s4
	s_wait_alu 0xfffd
	v_add_co_ci_u32_e32 v1, vcc_lo, s5, v1, vcc_lo
	s_wait_loadcnt_dscnt 0x202
	v_dual_mul_f32 v18, v11, v3 :: v_dual_mul_f32 v19, v13, v5
	v_mul_f32_e32 v3, v10, v3
	s_wait_loadcnt_dscnt 0x101
	v_dual_mul_f32 v5, v12, v5 :: v_dual_mul_f32 v20, v15, v7
	v_mul_f32_e32 v7, v14, v7
	s_wait_loadcnt_dscnt 0x0
	v_dual_mul_f32 v21, v17, v9 :: v_dual_fmac_f32 v18, v10, v2
	s_delay_alu instid0(VALU_DEP_3)
	v_dual_mul_f32 v9, v16, v9 :: v_dual_fmac_f32 v20, v14, v6
	v_fma_f32 v10, v2, v11, -v3
	v_fmac_f32_e32 v19, v12, v4
	v_fma_f32 v11, v4, v13, -v5
	v_fma_f32 v12, v6, v15, -v7
	v_fmac_f32_e32 v21, v16, v8
	v_fma_f32 v16, v8, v17, -v9
	v_cvt_f64_f32_e32 v[2:3], v18
	v_cvt_f64_f32_e32 v[4:5], v10
	v_cvt_f64_f32_e32 v[6:7], v19
	v_cvt_f64_f32_e32 v[8:9], v11
	v_cvt_f64_f32_e32 v[10:11], v20
	v_cvt_f64_f32_e32 v[12:13], v12
	v_cvt_f64_f32_e32 v[14:15], v21
	v_cvt_f64_f32_e32 v[16:17], v16
	v_mul_f64_e32 v[2:3], s[2:3], v[2:3]
	v_mul_f64_e32 v[4:5], s[2:3], v[4:5]
	;; [unrolled: 1-line block ×8, first 2 shown]
	v_cvt_f32_f64_e32 v2, v[2:3]
	v_cvt_f32_f64_e32 v3, v[4:5]
	;; [unrolled: 1-line block ×8, first 2 shown]
	v_add_co_u32 v10, vcc_lo, v0, s6
	s_wait_alu 0xfffd
	v_add_co_ci_u32_e32 v11, vcc_lo, s7, v1, vcc_lo
	s_delay_alu instid0(VALU_DEP_2) | instskip(SKIP_1) | instid1(VALU_DEP_2)
	v_add_co_u32 v12, vcc_lo, v10, s6
	s_wait_alu 0xfffd
	v_add_co_ci_u32_e32 v13, vcc_lo, s7, v11, vcc_lo
	s_delay_alu instid0(VALU_DEP_2) | instskip(SKIP_1) | instid1(VALU_DEP_2)
	v_add_co_u32 v14, vcc_lo, v12, s6
	s_wait_alu 0xfffd
	v_add_co_ci_u32_e32 v15, vcc_lo, s7, v13, vcc_lo
	global_store_b64 v[0:1], v[2:3], off
	global_store_b64 v[10:11], v[4:5], off
	;; [unrolled: 1-line block ×4, first 2 shown]
.LBB0_23:
	s_nop 0
	s_sendmsg sendmsg(MSG_DEALLOC_VGPRS)
	s_endpgm
	.section	.rodata,"a",@progbits
	.p2align	6, 0x0
	.amdhsa_kernel bluestein_single_back_len2400_dim1_sp_op_CI_CI
		.amdhsa_group_segment_fixed_size 19200
		.amdhsa_private_segment_fixed_size 0
		.amdhsa_kernarg_size 104
		.amdhsa_user_sgpr_count 2
		.amdhsa_user_sgpr_dispatch_ptr 0
		.amdhsa_user_sgpr_queue_ptr 0
		.amdhsa_user_sgpr_kernarg_segment_ptr 1
		.amdhsa_user_sgpr_dispatch_id 0
		.amdhsa_user_sgpr_private_segment_size 0
		.amdhsa_wavefront_size32 1
		.amdhsa_uses_dynamic_stack 0
		.amdhsa_enable_private_segment 0
		.amdhsa_system_sgpr_workgroup_id_x 1
		.amdhsa_system_sgpr_workgroup_id_y 0
		.amdhsa_system_sgpr_workgroup_id_z 0
		.amdhsa_system_sgpr_workgroup_info 0
		.amdhsa_system_vgpr_workitem_id 0
		.amdhsa_next_free_vgpr 127
		.amdhsa_next_free_sgpr 18
		.amdhsa_reserve_vcc 1
		.amdhsa_float_round_mode_32 0
		.amdhsa_float_round_mode_16_64 0
		.amdhsa_float_denorm_mode_32 3
		.amdhsa_float_denorm_mode_16_64 3
		.amdhsa_fp16_overflow 0
		.amdhsa_workgroup_processor_mode 1
		.amdhsa_memory_ordered 1
		.amdhsa_forward_progress 0
		.amdhsa_round_robin_scheduling 0
		.amdhsa_exception_fp_ieee_invalid_op 0
		.amdhsa_exception_fp_denorm_src 0
		.amdhsa_exception_fp_ieee_div_zero 0
		.amdhsa_exception_fp_ieee_overflow 0
		.amdhsa_exception_fp_ieee_underflow 0
		.amdhsa_exception_fp_ieee_inexact 0
		.amdhsa_exception_int_div_zero 0
	.end_amdhsa_kernel
	.text
.Lfunc_end0:
	.size	bluestein_single_back_len2400_dim1_sp_op_CI_CI, .Lfunc_end0-bluestein_single_back_len2400_dim1_sp_op_CI_CI
                                        ; -- End function
	.section	.AMDGPU.csdata,"",@progbits
; Kernel info:
; codeLenInByte = 12012
; NumSgprs: 20
; NumVgprs: 127
; ScratchSize: 0
; MemoryBound: 0
; FloatMode: 240
; IeeeMode: 1
; LDSByteSize: 19200 bytes/workgroup (compile time only)
; SGPRBlocks: 2
; VGPRBlocks: 15
; NumSGPRsForWavesPerEU: 20
; NumVGPRsForWavesPerEU: 127
; Occupancy: 10
; WaveLimiterHint : 1
; COMPUTE_PGM_RSRC2:SCRATCH_EN: 0
; COMPUTE_PGM_RSRC2:USER_SGPR: 2
; COMPUTE_PGM_RSRC2:TRAP_HANDLER: 0
; COMPUTE_PGM_RSRC2:TGID_X_EN: 1
; COMPUTE_PGM_RSRC2:TGID_Y_EN: 0
; COMPUTE_PGM_RSRC2:TGID_Z_EN: 0
; COMPUTE_PGM_RSRC2:TIDIG_COMP_CNT: 0
	.text
	.p2alignl 7, 3214868480
	.fill 96, 4, 3214868480
	.type	__hip_cuid_aace97dd3eaf77aa,@object ; @__hip_cuid_aace97dd3eaf77aa
	.section	.bss,"aw",@nobits
	.globl	__hip_cuid_aace97dd3eaf77aa
__hip_cuid_aace97dd3eaf77aa:
	.byte	0                               ; 0x0
	.size	__hip_cuid_aace97dd3eaf77aa, 1

	.ident	"AMD clang version 19.0.0git (https://github.com/RadeonOpenCompute/llvm-project roc-6.4.0 25133 c7fe45cf4b819c5991fe208aaa96edf142730f1d)"
	.section	".note.GNU-stack","",@progbits
	.addrsig
	.addrsig_sym __hip_cuid_aace97dd3eaf77aa
	.amdgpu_metadata
---
amdhsa.kernels:
  - .args:
      - .actual_access:  read_only
        .address_space:  global
        .offset:         0
        .size:           8
        .value_kind:     global_buffer
      - .actual_access:  read_only
        .address_space:  global
        .offset:         8
        .size:           8
        .value_kind:     global_buffer
      - .actual_access:  read_only
        .address_space:  global
        .offset:         16
        .size:           8
        .value_kind:     global_buffer
      - .actual_access:  read_only
        .address_space:  global
        .offset:         24
        .size:           8
        .value_kind:     global_buffer
      - .actual_access:  read_only
        .address_space:  global
        .offset:         32
        .size:           8
        .value_kind:     global_buffer
      - .offset:         40
        .size:           8
        .value_kind:     by_value
      - .address_space:  global
        .offset:         48
        .size:           8
        .value_kind:     global_buffer
      - .address_space:  global
        .offset:         56
        .size:           8
        .value_kind:     global_buffer
      - .address_space:  global
        .offset:         64
        .size:           8
        .value_kind:     global_buffer
      - .address_space:  global
        .offset:         72
        .size:           8
        .value_kind:     global_buffer
      - .offset:         80
        .size:           4
        .value_kind:     by_value
      - .address_space:  global
        .offset:         88
        .size:           8
        .value_kind:     global_buffer
      - .address_space:  global
        .offset:         96
        .size:           8
        .value_kind:     global_buffer
    .group_segment_fixed_size: 19200
    .kernarg_segment_align: 8
    .kernarg_segment_size: 104
    .language:       OpenCL C
    .language_version:
      - 2
      - 0
    .max_flat_workgroup_size: 240
    .name:           bluestein_single_back_len2400_dim1_sp_op_CI_CI
    .private_segment_fixed_size: 0
    .sgpr_count:     20
    .sgpr_spill_count: 0
    .symbol:         bluestein_single_back_len2400_dim1_sp_op_CI_CI.kd
    .uniform_work_group_size: 1
    .uses_dynamic_stack: false
    .vgpr_count:     127
    .vgpr_spill_count: 0
    .wavefront_size: 32
    .workgroup_processor_mode: 1
amdhsa.target:   amdgcn-amd-amdhsa--gfx1201
amdhsa.version:
  - 1
  - 2
...

	.end_amdgpu_metadata
